;; amdgpu-corpus repo=ROCm/rocFFT kind=compiled arch=gfx1201 opt=O3
	.text
	.amdgcn_target "amdgcn-amd-amdhsa--gfx1201"
	.amdhsa_code_object_version 6
	.protected	bluestein_single_back_len2916_dim1_dp_op_CI_CI ; -- Begin function bluestein_single_back_len2916_dim1_dp_op_CI_CI
	.globl	bluestein_single_back_len2916_dim1_dp_op_CI_CI
	.p2align	8
	.type	bluestein_single_back_len2916_dim1_dp_op_CI_CI,@function
bluestein_single_back_len2916_dim1_dp_op_CI_CI: ; @bluestein_single_back_len2916_dim1_dp_op_CI_CI
; %bb.0:
	s_load_b128 s[16:19], s[0:1], 0x28
	v_mul_u32_u24_e32 v1, 0x10e, v0
	s_mov_b32 s2, exec_lo
	v_mov_b32_e32 v3, 0
	s_delay_alu instid0(VALU_DEP_2) | instskip(NEXT) | instid1(VALU_DEP_1)
	v_lshrrev_b32_e32 v1, 16, v1
	v_add_nc_u32_e32 v2, ttmp9, v1
	s_wait_kmcnt 0x0
	s_delay_alu instid0(VALU_DEP_1)
	v_cmpx_gt_u64_e64 s[16:17], v[2:3]
	s_cbranch_execz .LBB0_2
; %bb.1:
	s_clause 0x1
	s_load_b128 s[4:7], s[0:1], 0x18
	s_load_b128 s[8:11], s[0:1], 0x0
	v_mul_lo_u16 v1, 0xf3, v1
	s_load_b64 s[0:1], s[0:1], 0x38
	v_mov_b32_e32 v4, v2
	s_delay_alu instid0(VALU_DEP_2) | instskip(SKIP_2) | instid1(VALU_DEP_1)
	v_sub_nc_u16 v156, v0, v1
	scratch_store_b64 off, v[4:5], off      ; 8-byte Folded Spill
	v_and_b32_e32 v7, 0xffff, v156
	v_mov_b32_e32 v141, v7
	s_wait_kmcnt 0x0
	s_load_b128 s[12:15], s[4:5], 0x0
	s_delay_alu instid0(VALU_DEP_1)
	v_lshlrev_b32_e32 v218, 4, v141
	s_wait_kmcnt 0x0
	v_mad_co_u64_u32 v[0:1], null, s14, v2, 0
	v_mad_co_u64_u32 v[2:3], null, s12, v7, 0
	s_mul_u64 s[2:3], s[12:13], 0x1e60
	s_mul_i32 s4, s13, 0xffff7750
	s_delay_alu instid0(SALU_CYCLE_1) | instskip(NEXT) | instid1(VALU_DEP_1)
	s_sub_co_i32 s4, s4, s12
	v_mad_co_u64_u32 v[4:5], null, s15, v4, v[1:2]
	s_delay_alu instid0(VALU_DEP_1) | instskip(SKIP_2) | instid1(VALU_DEP_1)
	v_mad_co_u64_u32 v[5:6], null, s13, v7, v[3:4]
	v_mov_b32_e32 v1, v4
	s_mov_b32 s13, 0xbfebb67a
	v_lshlrev_b64_e32 v[0:1], 4, v[0:1]
	s_delay_alu instid0(VALU_DEP_3) | instskip(NEXT) | instid1(VALU_DEP_2)
	v_mov_b32_e32 v3, v5
	v_add_co_u32 v0, vcc_lo, s18, v0
	s_delay_alu instid0(VALU_DEP_2) | instskip(NEXT) | instid1(VALU_DEP_4)
	v_lshlrev_b64_e32 v[2:3], 4, v[2:3]
	v_add_co_ci_u32_e32 v1, vcc_lo, s19, v1, vcc_lo
	s_delay_alu instid0(VALU_DEP_2) | instskip(SKIP_1) | instid1(VALU_DEP_2)
	v_add_co_u32 v0, vcc_lo, v0, v2
	s_wait_alu 0xfffd
	v_add_co_ci_u32_e32 v1, vcc_lo, v1, v3, vcc_lo
	global_load_b128 v[6:9], v218, s[8:9]
	global_load_b128 v[12:15], v[0:1], off
	v_add_co_u32 v0, vcc_lo, v0, s2
	s_wait_alu 0xfffd
	v_add_co_ci_u32_e32 v1, vcc_lo, s3, v1, vcc_lo
	global_load_b128 v[28:31], v218, s[8:9] offset:7776
	global_load_b128 v[16:19], v[0:1], off
	v_add_co_u32 v0, vcc_lo, v0, s2
	s_wait_alu 0xfffd
	v_add_co_ci_u32_e32 v1, vcc_lo, s3, v1, vcc_lo
	global_load_b128 v[24:27], v218, s[8:9] offset:15552
	global_load_b128 v[20:23], v[0:1], off
	v_add_co_u32 v0, vcc_lo, v0, s2
	s_wait_alu 0xfffd
	v_add_co_ci_u32_e32 v1, vcc_lo, s3, v1, vcc_lo
	s_wait_loadcnt 0x5
	scratch_store_b128 off, v[6:9], off offset:152 ; 16-byte Folded Spill
	s_wait_loadcnt 0x4
	v_mul_f64_e32 v[2:3], v[14:15], v[8:9]
	v_mul_f64_e32 v[4:5], v[12:13], v[8:9]
	s_wait_loadcnt 0x3
	scratch_store_b128 off, v[28:31], off offset:8 ; 16-byte Folded Spill
	s_wait_loadcnt 0x1
	scratch_store_b128 off, v[24:27], off offset:24 ; 16-byte Folded Spill
	v_fma_f64 v[48:49], v[12:13], v[6:7], v[2:3]
	v_fma_f64 v[50:51], v[14:15], v[6:7], -v[4:5]
	v_mul_f64_e32 v[2:3], v[18:19], v[30:31]
	v_mul_f64_e32 v[4:5], v[16:17], v[30:31]
	global_load_b128 v[6:9], v218, s[8:9] offset:23328
	v_fma_f64 v[52:53], v[16:17], v[28:29], v[2:3]
	v_fma_f64 v[54:55], v[18:19], v[28:29], -v[4:5]
	global_load_b128 v[16:19], v[0:1], off
	s_wait_loadcnt 0x2
	v_mul_f64_e32 v[2:3], v[22:23], v[26:27]
	v_mul_f64_e32 v[4:5], v[20:21], v[26:27]
	v_add_co_u32 v0, vcc_lo, v0, s2
	s_wait_alu 0xfffd
	v_add_co_ci_u32_e32 v1, vcc_lo, s3, v1, vcc_lo
	s_delay_alu instid0(VALU_DEP_4) | instskip(NEXT) | instid1(VALU_DEP_4)
	v_fma_f64 v[56:57], v[20:21], v[24:25], v[2:3]
	v_fma_f64 v[58:59], v[22:23], v[24:25], -v[4:5]
	global_load_b128 v[20:23], v[0:1], off
	v_add_co_u32 v0, vcc_lo, v0, s2
	s_wait_alu 0xfffd
	v_add_co_ci_u32_e32 v1, vcc_lo, s3, v1, vcc_lo
	global_load_b128 v[24:27], v[0:1], off
	v_mad_co_u64_u32 v[0:1], null, 0xffff7750, s12, v[0:1]
	s_delay_alu instid0(VALU_DEP_1)
	v_add_nc_u32_e32 v1, s4, v1
	global_load_b128 v[28:31], v[0:1], off
	v_add_co_u32 v0, vcc_lo, v0, s2
	s_wait_alu 0xfffd
	v_add_co_ci_u32_e32 v1, vcc_lo, s3, v1, vcc_lo
	global_load_b128 v[32:35], v[0:1], off
	v_add_co_u32 v0, vcc_lo, v0, s2
	s_wait_alu 0xfffd
	v_add_co_ci_u32_e32 v1, vcc_lo, s3, v1, vcc_lo
	;; [unrolled: 4-line block ×4, first 2 shown]
	s_wait_loadcnt 0x7
	scratch_store_b128 off, v[6:9], off offset:40 ; 16-byte Folded Spill
	s_wait_loadcnt 0x6
	v_mul_f64_e32 v[2:3], v[18:19], v[8:9]
	v_mul_f64_e32 v[4:5], v[16:17], v[8:9]
	s_delay_alu instid0(VALU_DEP_2) | instskip(NEXT) | instid1(VALU_DEP_2)
	v_fma_f64 v[60:61], v[16:17], v[6:7], v[2:3]
	v_fma_f64 v[62:63], v[18:19], v[6:7], -v[4:5]
	global_load_b128 v[6:9], v218, s[8:9] offset:31104
	s_wait_loadcnt 0x0
	v_mul_f64_e32 v[2:3], v[22:23], v[8:9]
	v_mul_f64_e32 v[4:5], v[20:21], v[8:9]
	scratch_store_b128 off, v[6:9], off offset:56 ; 16-byte Folded Spill
	v_fma_f64 v[64:65], v[20:21], v[6:7], v[2:3]
	v_fma_f64 v[66:67], v[22:23], v[6:7], -v[4:5]
	global_load_b128 v[6:9], v218, s[8:9] offset:38880
	s_wait_loadcnt 0x0
	v_mul_f64_e32 v[2:3], v[26:27], v[8:9]
	v_mul_f64_e32 v[4:5], v[24:25], v[8:9]
	scratch_store_b128 off, v[6:9], off offset:72 ; 16-byte Folded Spill
	;; [unrolled: 7-line block ×5, first 2 shown]
	v_fma_f64 v[80:81], v[36:37], v[6:7], v[2:3]
	v_fma_f64 v[82:83], v[38:39], v[6:7], -v[4:5]
	global_load_b128 v[6:9], v218, s[8:9] offset:27216
	s_wait_loadcnt 0x0
	scratch_store_b128 off, v[6:9], off offset:136 ; 16-byte Folded Spill
	global_load_b128 v[227:230], v218, s[8:9] offset:34992
	global_load_b128 v[44:47], v[0:1], off
	v_mul_f64_e32 v[2:3], v[42:43], v[8:9]
	v_mul_f64_e32 v[4:5], v[40:41], v[8:9]
	v_add_co_u32 v0, vcc_lo, v0, s2
	s_wait_alu 0xfffd
	v_add_co_ci_u32_e32 v1, vcc_lo, s3, v1, vcc_lo
	s_mov_b32 s2, 0xe8584caa
	s_mov_b32 s3, 0x3febb67a
	s_wait_alu 0xfffe
	s_mov_b32 s12, s2
	v_cmp_gt_u16_e64 vcc_lo, 0x51, v156
	v_fma_f64 v[84:85], v[40:41], v[6:7], v[2:3]
	v_fma_f64 v[86:87], v[42:43], v[6:7], -v[4:5]
	s_wait_loadcnt 0x0
	v_mul_f64_e32 v[2:3], v[46:47], v[229:230]
	v_mul_f64_e32 v[4:5], v[44:45], v[229:230]
	s_delay_alu instid0(VALU_DEP_2) | instskip(NEXT) | instid1(VALU_DEP_2)
	v_fma_f64 v[88:89], v[44:45], v[227:228], v[2:3]
	v_fma_f64 v[90:91], v[46:47], v[227:228], -v[4:5]
	global_load_b128 v[92:95], v[0:1], off
	global_load_b128 v[44:47], v218, s[8:9] offset:42768
	s_wait_loadcnt 0x0
	v_mul_f64_e32 v[0:1], v[94:95], v[46:47]
	v_mul_f64_e32 v[2:3], v[92:93], v[46:47]
	s_delay_alu instid0(VALU_DEP_2) | instskip(NEXT) | instid1(VALU_DEP_2)
	v_fma_f64 v[92:93], v[92:93], v[44:45], v[0:1]
	v_fma_f64 v[94:95], v[94:95], v[44:45], -v[2:3]
	ds_store_b128 v218, v[48:51]
	ds_store_b128 v218, v[52:55] offset:7776
	ds_store_b128 v218, v[56:59] offset:15552
	;; [unrolled: 1-line block ×11, first 2 shown]
	s_load_b128 s[4:7], s[6:7], 0x0
	global_wb scope:SCOPE_SE
	s_wait_storecnt_dscnt 0x0
	s_wait_kmcnt 0x0
	s_barrier_signal -1
	s_barrier_wait -1
	global_inv scope:SCOPE_SE
	ds_load_b128 v[48:51], v218 offset:15552
	ds_load_b128 v[52:55], v218
	ds_load_b128 v[56:59], v218 offset:31104
	s_wait_dscnt 0x1
	v_add_f64_e32 v[0:1], v[52:53], v[48:49]
	v_add_f64_e32 v[2:3], v[54:55], v[50:51]
	s_wait_dscnt 0x0
	v_add_f64_e32 v[4:5], v[48:49], v[56:57]
	v_add_f64_e32 v[6:7], v[50:51], v[58:59]
	v_add_f64_e64 v[8:9], v[50:51], -v[58:59]
	v_add_f64_e64 v[10:11], v[48:49], -v[56:57]
	v_add_f64_e32 v[0:1], v[0:1], v[56:57]
	v_add_f64_e32 v[2:3], v[2:3], v[58:59]
	ds_load_b128 v[48:51], v218 offset:23328
	ds_load_b128 v[56:59], v218 offset:7776
	;; [unrolled: 1-line block ×3, first 2 shown]
	v_fma_f64 v[4:5], v[4:5], -0.5, v[52:53]
	v_fma_f64 v[6:7], v[6:7], -0.5, v[54:55]
	s_wait_dscnt 0x1
	v_add_f64_e32 v[12:13], v[56:57], v[48:49]
	v_add_f64_e32 v[14:15], v[58:59], v[50:51]
	s_wait_dscnt 0x0
	v_add_f64_e32 v[16:17], v[50:51], v[62:63]
	v_add_f64_e32 v[18:19], v[48:49], v[60:61]
	v_add_f64_e64 v[20:21], v[50:51], -v[62:63]
	v_add_f64_e64 v[22:23], v[48:49], -v[60:61]
	v_add_f64_e32 v[12:13], v[12:13], v[60:61]
	v_add_f64_e32 v[14:15], v[14:15], v[62:63]
	ds_load_b128 v[48:51], v218 offset:19440
	ds_load_b128 v[60:63], v218 offset:3888
	ds_load_b128 v[64:67], v218 offset:34992
	v_fma_f64 v[16:17], v[16:17], -0.5, v[58:59]
	v_fma_f64 v[18:19], v[18:19], -0.5, v[56:57]
	s_wait_dscnt 0x1
	v_add_f64_e32 v[24:25], v[60:61], v[48:49]
	v_add_f64_e32 v[26:27], v[62:63], v[50:51]
	s_wait_dscnt 0x0
	v_add_f64_e32 v[28:29], v[48:49], v[64:65]
	v_add_f64_e32 v[30:31], v[50:51], v[66:67]
	v_add_f64_e64 v[32:33], v[50:51], -v[66:67]
	v_add_f64_e64 v[34:35], v[48:49], -v[64:65]
	;; [unrolled: 1-line block ×4, first 2 shown]
	v_add_f64_e32 v[24:25], v[24:25], v[64:65]
	v_add_f64_e32 v[26:27], v[26:27], v[66:67]
	ds_load_b128 v[48:51], v218 offset:27216
	ds_load_b128 v[64:67], v218 offset:11664
	;; [unrolled: 1-line block ×3, first 2 shown]
	v_fma_f64 v[30:31], v[30:31], -0.5, v[62:63]
	v_fma_f64 v[28:29], v[28:29], -0.5, v[60:61]
	global_wb scope:SCOPE_SE
	s_wait_dscnt 0x0
	s_barrier_signal -1
	s_barrier_wait -1
	global_inv scope:SCOPE_SE
	v_add_f64_e32 v[72:73], v[64:65], v[48:49]
	v_add_f64_e32 v[78:79], v[48:49], v[68:69]
	v_add_f64_e64 v[90:91], v[48:49], -v[68:69]
	v_add_f64_e32 v[48:49], v[0:1], v[12:13]
	v_fma_f64 v[0:1], v[22:23], s[12:13], v[16:17]
	v_add_f64_e32 v[74:75], v[66:67], v[50:51]
	v_add_f64_e32 v[76:77], v[50:51], v[70:71]
	v_add_f64_e64 v[88:89], v[50:51], -v[70:71]
	v_add_f64_e32 v[50:51], v[2:3], v[14:15]
	v_fma_f64 v[2:3], v[20:21], s[2:3], v[18:19]
	v_fma_f64 v[14:15], v[10:11], s[12:13], v[6:7]
	;; [unrolled: 1-line block ×3, first 2 shown]
	v_add_f64_e32 v[68:69], v[72:73], v[68:69]
	v_fma_f64 v[94:95], v[78:79], -0.5, v[64:65]
	v_mul_f64_e32 v[12:13], s[2:3], v[0:1]
	v_add_f64_e32 v[70:71], v[74:75], v[70:71]
	v_fma_f64 v[92:93], v[76:77], -0.5, v[66:67]
	v_add_f64_e32 v[56:57], v[24:25], v[68:69]
	v_add_f64_e64 v[60:61], v[24:25], -v[68:69]
	v_fma_f64 v[12:13], v[2:3], 0.5, v[12:13]
	v_mul_f64_e32 v[2:3], s[12:13], v[2:3]
	v_add_f64_e32 v[58:59], v[26:27], v[70:71]
	v_add_f64_e64 v[62:63], v[26:27], -v[70:71]
	s_delay_alu instid0(VALU_DEP_3) | instskip(SKIP_2) | instid1(VALU_DEP_3)
	v_fma_f64 v[0:1], v[0:1], 0.5, v[2:3]
	v_fma_f64 v[2:3], v[8:9], s[2:3], v[4:5]
	v_fma_f64 v[4:5], v[8:9], s[12:13], v[4:5]
	v_add_f64_e32 v[66:67], v[14:15], v[0:1]
	v_add_f64_e64 v[70:71], v[14:15], -v[0:1]
	v_fma_f64 v[0:1], v[20:21], s[12:13], v[18:19]
	v_add_f64_e32 v[64:65], v[2:3], v[12:13]
	v_add_f64_e64 v[68:69], v[2:3], -v[12:13]
	v_fma_f64 v[2:3], v[22:23], s[2:3], v[16:17]
	s_delay_alu instid0(VALU_DEP_4) | instskip(NEXT) | instid1(VALU_DEP_1)
	v_mul_f64_e32 v[8:9], -0.5, v[0:1]
	v_fma_f64 v[8:9], v[2:3], s[2:3], v[8:9]
	v_mul_f64_e32 v[2:3], -0.5, v[2:3]
	s_delay_alu instid0(VALU_DEP_2) | instskip(NEXT) | instid1(VALU_DEP_2)
	v_add_f64_e32 v[72:73], v[4:5], v[8:9]
	v_fma_f64 v[0:1], v[0:1], s[12:13], v[2:3]
	v_add_f64_e64 v[76:77], v[4:5], -v[8:9]
	v_fma_f64 v[2:3], v[88:89], s[2:3], v[94:95]
	s_delay_alu instid0(VALU_DEP_3) | instskip(SKIP_3) | instid1(VALU_DEP_2)
	v_add_f64_e32 v[74:75], v[6:7], v[0:1]
	v_add_f64_e64 v[78:79], v[6:7], -v[0:1]
	v_fma_f64 v[0:1], v[90:91], s[12:13], v[92:93]
	v_fma_f64 v[6:7], v[34:35], s[12:13], v[30:31]
	v_mul_f64_e32 v[4:5], s[2:3], v[0:1]
	s_delay_alu instid0(VALU_DEP_1) | instskip(SKIP_1) | instid1(VALU_DEP_1)
	v_fma_f64 v[4:5], v[2:3], 0.5, v[4:5]
	v_mul_f64_e32 v[2:3], s[12:13], v[2:3]
	v_fma_f64 v[0:1], v[0:1], 0.5, v[2:3]
	v_fma_f64 v[2:3], v[32:33], s[2:3], v[28:29]
	s_delay_alu instid0(VALU_DEP_2) | instskip(SKIP_2) | instid1(VALU_DEP_4)
	v_add_f64_e32 v[82:83], v[6:7], v[0:1]
	v_add_f64_e64 v[86:87], v[6:7], -v[0:1]
	v_fma_f64 v[0:1], v[88:89], s[12:13], v[94:95]
	v_add_f64_e32 v[80:81], v[2:3], v[4:5]
	v_add_f64_e64 v[84:85], v[2:3], -v[4:5]
	v_fma_f64 v[2:3], v[90:91], s[2:3], v[92:93]
	v_fma_f64 v[6:7], v[34:35], s[2:3], v[30:31]
	;; [unrolled: 1-line block ×3, first 2 shown]
	v_mul_f64_e32 v[8:9], -0.5, v[0:1]
	s_delay_alu instid0(VALU_DEP_1) | instskip(SKIP_1) | instid1(VALU_DEP_2)
	v_fma_f64 v[8:9], v[2:3], s[2:3], v[8:9]
	v_mul_f64_e32 v[2:3], -0.5, v[2:3]
	v_add_f64_e32 v[88:89], v[4:5], v[8:9]
	s_delay_alu instid0(VALU_DEP_2) | instskip(SKIP_1) | instid1(VALU_DEP_2)
	v_fma_f64 v[0:1], v[0:1], s[12:13], v[2:3]
	v_add_f64_e64 v[92:93], v[4:5], -v[8:9]
	v_add_f64_e32 v[90:91], v[6:7], v[0:1]
	v_add_f64_e64 v[94:95], v[6:7], -v[0:1]
	v_mul_lo_u16 v0, v156, 6
	s_delay_alu instid0(VALU_DEP_1) | instskip(SKIP_2) | instid1(VALU_DEP_3)
	v_and_b32_e32 v0, 0xffff, v0
	v_add_co_u32 v192, s14, 0xf3, v141
	v_dual_mov_b32 v43, v141 :: v_dual_and_b32 v142, 0xff, v156
	v_lshlrev_b32_e32 v220, 4, v0
	s_delay_alu instid0(VALU_DEP_3)
	v_mul_u32_u24_e32 v0, 6, v192
	ds_store_b128 v220, v[48:51]
	ds_store_b128 v220, v[52:55] offset:48
	ds_store_b128 v220, v[64:67] offset:16
	ds_store_b128 v220, v[72:75] offset:32
	ds_store_b128 v220, v[68:71] offset:64
	ds_store_b128 v220, v[76:79] offset:80
	v_lshlrev_b32_e32 v219, 4, v0
	v_mul_lo_u16 v0, 0xab, v142
	ds_store_b128 v219, v[56:59]
	ds_store_b128 v219, v[80:83] offset:16
	ds_store_b128 v219, v[88:91] offset:32
	;; [unrolled: 1-line block ×5, first 2 shown]
	v_lshrrev_b16 v114, 10, v0
	global_wb scope:SCOPE_SE
	s_wait_dscnt 0x0
	s_barrier_signal -1
	s_barrier_wait -1
	global_inv scope:SCOPE_SE
	v_mul_lo_u16 v0, v114, 6
	ds_load_b128 v[52:55], v218 offset:23328
	ds_load_b128 v[76:79], v218 offset:15552
	v_and_b32_e32 v112, 0xffff, v192
	ds_load_b128 v[64:67], v218 offset:42768
	ds_load_b128 v[125:128], v218 offset:3888
	v_sub_nc_u16 v0, v156, v0
	v_add_co_u32 v200, null, 0x1e6, v141
	v_add_co_u32 v204, null, 0x2d9, v141
	s_delay_alu instid0(VALU_DEP_3) | instskip(NEXT) | instid1(VALU_DEP_3)
	v_and_b32_e32 v113, 0xff, v0
	v_and_b32_e32 v158, 0xffff, v200
	ds_load_b128 v[117:120], v218 offset:34992
	v_and_b32_e32 v157, 0xffff, v204
	ds_load_b128 v[72:75], v218 offset:11664
	v_mad_co_u64_u32 v[0:1], null, 0x50, v113, s[10:11]
	s_clause 0x3
	global_load_b128 v[48:51], v[0:1], off offset:32
	global_load_b128 v[68:71], v[0:1], off
	global_load_b128 v[60:63], v[0:1], off offset:64
	global_load_b128 v[84:87], v[0:1], off offset:48
	s_wait_loadcnt_dscnt 0x305
	v_mul_f64_e32 v[2:3], v[54:55], v[50:51]
	s_delay_alu instid0(VALU_DEP_1) | instskip(SKIP_1) | instid1(VALU_DEP_1)
	v_fma_f64 v[98:99], v[52:53], v[48:49], -v[2:3]
	v_mul_f64_e32 v[2:3], v[52:53], v[50:51]
	v_fma_f64 v[96:97], v[54:55], v[48:49], v[2:3]
	ds_load_b128 v[52:55], v218 offset:38880
	s_wait_loadcnt_dscnt 0x100
	v_mul_f64_e32 v[2:3], v[52:53], v[62:63]
	s_delay_alu instid0(VALU_DEP_1) | instskip(SKIP_1) | instid1(VALU_DEP_1)
	v_fma_f64 v[100:101], v[54:55], v[60:61], v[2:3]
	v_mul_f64_e32 v[2:3], v[54:55], v[62:63]
	v_fma_f64 v[102:103], v[52:53], v[60:61], -v[2:3]
	v_mul_u32_u24_e32 v2, 0xaaab, v112
	ds_load_b128 v[52:55], v218 offset:27216
	v_lshrrev_b32_e32 v115, 18, v2
	s_delay_alu instid0(VALU_DEP_1) | instskip(NEXT) | instid1(VALU_DEP_1)
	v_mul_lo_u16 v2, v115, 6
	v_sub_nc_u16 v116, v192, v2
	s_delay_alu instid0(VALU_DEP_1) | instskip(NEXT) | instid1(VALU_DEP_1)
	v_mul_lo_u16 v2, 0x50, v116
	v_and_b32_e32 v2, 0xffff, v2
	s_delay_alu instid0(VALU_DEP_1)
	v_add_co_u32 v2, s15, s10, v2
	s_wait_alu 0xf1ff
	v_add_co_ci_u32_e64 v3, null, s11, 0, s15
	s_clause 0x1
	global_load_b128 v[56:59], v[2:3], off offset:32
	global_load_b128 v[80:83], v[2:3], off offset:16
	s_wait_loadcnt_dscnt 0x100
	v_mul_f64_e32 v[4:5], v[54:55], v[58:59]
	s_delay_alu instid0(VALU_DEP_1) | instskip(SKIP_1) | instid1(VALU_DEP_1)
	v_fma_f64 v[90:91], v[52:53], v[56:57], -v[4:5]
	v_mul_f64_e32 v[4:5], v[52:53], v[58:59]
	v_fma_f64 v[88:89], v[54:55], v[56:57], v[4:5]
	global_load_b128 v[52:55], v[2:3], off offset:64
	s_wait_loadcnt 0x0
	v_mul_f64_e32 v[4:5], v[64:65], v[54:55]
	s_delay_alu instid0(VALU_DEP_1) | instskip(SKIP_1) | instid1(VALU_DEP_1)
	v_fma_f64 v[92:93], v[66:67], v[52:53], v[4:5]
	v_mul_f64_e32 v[4:5], v[66:67], v[54:55]
	v_fma_f64 v[94:95], v[64:65], v[52:53], -v[4:5]
	ds_load_b128 v[64:67], v218 offset:7776
	s_wait_dscnt 0x0
	v_mul_f64_e32 v[4:5], v[66:67], v[70:71]
	s_delay_alu instid0(VALU_DEP_1) | instskip(SKIP_1) | instid1(VALU_DEP_2)
	v_fma_f64 v[104:105], v[64:65], v[68:69], -v[4:5]
	v_mul_f64_e32 v[4:5], v[64:65], v[70:71]
	v_add_f64_e32 v[24:25], v[104:105], v[98:99]
	s_delay_alu instid0(VALU_DEP_2) | instskip(SKIP_3) | instid1(VALU_DEP_1)
	v_fma_f64 v[108:109], v[66:67], v[68:69], v[4:5]
	global_load_b128 v[64:67], v[2:3], off
	v_add_f64_e32 v[24:25], v[24:25], v[102:103]
	v_add_f64_e32 v[26:27], v[108:109], v[96:97]
	;; [unrolled: 1-line block ×3, first 2 shown]
	s_wait_loadcnt 0x0
	v_mul_f64_e32 v[4:5], v[74:75], v[66:67]
	s_delay_alu instid0(VALU_DEP_1) | instskip(SKIP_1) | instid1(VALU_DEP_2)
	v_fma_f64 v[106:107], v[72:73], v[64:65], -v[4:5]
	v_mul_f64_e32 v[4:5], v[72:73], v[66:67]
	v_add_f64_e32 v[28:29], v[106:107], v[90:91]
	s_delay_alu instid0(VALU_DEP_2) | instskip(SKIP_3) | instid1(VALU_DEP_1)
	v_fma_f64 v[110:111], v[74:75], v[64:65], v[4:5]
	global_load_b128 v[72:75], v[0:1], off offset:16
	v_add_f64_e32 v[28:29], v[28:29], v[94:95]
	v_add_f64_e32 v[30:31], v[110:111], v[88:89]
	;; [unrolled: 1-line block ×3, first 2 shown]
	s_wait_loadcnt 0x0
	v_mul_f64_e32 v[4:5], v[78:79], v[74:75]
	v_mul_f64_e32 v[6:7], v[76:77], v[74:75]
	s_delay_alu instid0(VALU_DEP_2) | instskip(NEXT) | instid1(VALU_DEP_2)
	v_fma_f64 v[4:5], v[76:77], v[72:73], -v[4:5]
	v_fma_f64 v[6:7], v[78:79], v[72:73], v[6:7]
	ds_load_b128 v[76:79], v218 offset:31104
	s_wait_dscnt 0x0
	v_mul_f64_e32 v[0:1], v[78:79], v[86:87]
	v_mul_f64_e32 v[8:9], v[76:77], v[86:87]
	s_delay_alu instid0(VALU_DEP_2) | instskip(NEXT) | instid1(VALU_DEP_2)
	v_fma_f64 v[0:1], v[76:77], v[84:85], -v[0:1]
	v_fma_f64 v[8:9], v[78:79], v[84:85], v[8:9]
	ds_load_b128 v[76:79], v218 offset:19440
	s_wait_dscnt 0x0
	v_mul_f64_e32 v[10:11], v[78:79], v[82:83]
	v_mul_f64_e32 v[12:13], v[76:77], v[82:83]
	v_add_f64_e32 v[16:17], v[4:5], v[0:1]
	v_add_f64_e32 v[18:19], v[6:7], v[8:9]
	s_delay_alu instid0(VALU_DEP_4) | instskip(NEXT) | instid1(VALU_DEP_4)
	v_fma_f64 v[10:11], v[76:77], v[80:81], -v[10:11]
	v_fma_f64 v[12:13], v[78:79], v[80:81], v[12:13]
	global_load_b128 v[76:79], v[2:3], off offset:48
	s_wait_loadcnt 0x0
	v_mul_f64_e32 v[2:3], v[119:120], v[78:79]
	v_mul_f64_e32 v[14:15], v[117:118], v[78:79]
	s_delay_alu instid0(VALU_DEP_2) | instskip(NEXT) | instid1(VALU_DEP_2)
	v_fma_f64 v[2:3], v[117:118], v[76:77], -v[2:3]
	v_fma_f64 v[14:15], v[119:120], v[76:77], v[14:15]
	ds_load_b128 v[117:120], v218
	global_wb scope:SCOPE_SE
	s_wait_dscnt 0x0
	s_barrier_signal -1
	s_barrier_wait -1
	global_inv scope:SCOPE_SE
	v_add_f64_e32 v[20:21], v[117:118], v[4:5]
	v_add_f64_e32 v[22:23], v[119:120], v[6:7]
	v_fma_f64 v[16:17], v[16:17], -0.5, v[117:118]
	v_fma_f64 v[18:19], v[18:19], -0.5, v[119:120]
	v_add_f64_e64 v[6:7], v[6:7], -v[8:9]
	v_add_f64_e32 v[20:21], v[20:21], v[0:1]
	v_add_f64_e32 v[22:23], v[22:23], v[8:9]
	v_add_f64_e64 v[0:1], v[4:5], -v[0:1]
	s_delay_alu instid0(VALU_DEP_3)
	v_add_f64_e32 v[117:118], v[20:21], v[24:25]
	v_add_f64_e64 v[121:122], v[20:21], -v[24:25]
	v_add_f64_e32 v[24:25], v[125:126], v[10:11]
	v_add_f64_e32 v[119:120], v[22:23], v[26:27]
	v_add_f64_e64 v[123:124], v[22:23], -v[26:27]
	v_add_f64_e32 v[20:21], v[10:11], v[2:3]
	v_add_f64_e32 v[26:27], v[127:128], v[12:13]
	;; [unrolled: 1-line block ×3, first 2 shown]
	v_fma_f64 v[34:35], v[0:1], s[12:13], v[18:19]
	v_fma_f64 v[0:1], v[0:1], s[2:3], v[18:19]
	v_add_f64_e64 v[12:13], v[12:13], -v[14:15]
	v_add_f64_e32 v[24:25], v[24:25], v[2:3]
	v_add_f64_e64 v[2:3], v[10:11], -v[2:3]
	v_fma_f64 v[20:21], v[20:21], -0.5, v[125:126]
	v_add_f64_e32 v[26:27], v[26:27], v[14:15]
	v_fma_f64 v[22:23], v[22:23], -0.5, v[127:128]
	v_add_f64_e32 v[125:126], v[24:25], v[28:29]
	v_add_f64_e64 v[129:130], v[24:25], -v[28:29]
	v_add_f64_e32 v[28:29], v[96:97], v[100:101]
	v_add_f64_e32 v[24:25], v[98:99], v[102:103]
	;; [unrolled: 1-line block ×3, first 2 shown]
	v_add_f64_e64 v[131:132], v[26:27], -v[30:31]
	v_add_f64_e64 v[26:27], v[98:99], -v[102:103]
	;; [unrolled: 1-line block ×3, first 2 shown]
	v_fma_f64 v[18:19], v[2:3], s[12:13], v[22:23]
	v_fma_f64 v[2:3], v[2:3], s[2:3], v[22:23]
	v_fma_f64 v[28:29], v[28:29], -0.5, v[108:109]
	v_fma_f64 v[4:5], v[24:25], -0.5, v[104:105]
	s_delay_alu instid0(VALU_DEP_2) | instskip(NEXT) | instid1(VALU_DEP_2)
	v_fma_f64 v[8:9], v[26:27], s[12:13], v[28:29]
	v_fma_f64 v[24:25], v[30:31], s[2:3], v[4:5]
	;; [unrolled: 1-line block ×3, first 2 shown]
	s_delay_alu instid0(VALU_DEP_3) | instskip(NEXT) | instid1(VALU_DEP_1)
	v_mul_f64_e32 v[32:33], s[2:3], v[8:9]
	v_fma_f64 v[32:33], v[24:25], 0.5, v[32:33]
	v_mul_f64_e32 v[24:25], s[12:13], v[24:25]
	s_delay_alu instid0(VALU_DEP_1) | instskip(SKIP_3) | instid1(VALU_DEP_4)
	v_fma_f64 v[8:9], v[8:9], 0.5, v[24:25]
	v_fma_f64 v[24:25], v[6:7], s[2:3], v[16:17]
	v_fma_f64 v[6:7], v[6:7], s[12:13], v[16:17]
	v_mul_f64_e32 v[16:17], -0.5, v[4:5]
	v_add_f64_e32 v[98:99], v[34:35], v[8:9]
	v_add_f64_e64 v[102:103], v[34:35], -v[8:9]
	v_fma_f64 v[8:9], v[26:27], s[2:3], v[28:29]
	v_add_f64_e32 v[96:97], v[24:25], v[32:33]
	v_add_f64_e64 v[100:101], v[24:25], -v[32:33]
	v_lshrrev_b16 v24, 2, v204
	s_delay_alu instid0(VALU_DEP_1) | instskip(NEXT) | instid1(VALU_DEP_1)
	v_and_b32_e32 v24, 0xffff, v24
	v_mul_u32_u24_e32 v24, 0x4bdb, v24
	s_delay_alu instid0(VALU_DEP_1) | instskip(NEXT) | instid1(VALU_DEP_1)
	v_lshrrev_b32_e32 v41, 19, v24
	v_mul_lo_u16 v24, 0x6c, v41
	s_delay_alu instid0(VALU_DEP_1) | instskip(NEXT) | instid1(VALU_DEP_1)
	v_sub_nc_u16 v42, v204, v24
	v_lshlrev_b16 v24, 5, v42
	v_fma_f64 v[16:17], v[8:9], s[2:3], v[16:17]
	v_mul_f64_e32 v[8:9], -0.5, v[8:9]
	s_delay_alu instid0(VALU_DEP_3) | instskip(NEXT) | instid1(VALU_DEP_3)
	v_and_b32_e32 v24, 0xffff, v24
	v_add_f64_e32 v[133:134], v[6:7], v[16:17]
	s_delay_alu instid0(VALU_DEP_3) | instskip(SKIP_3) | instid1(VALU_DEP_4)
	v_fma_f64 v[4:5], v[4:5], s[12:13], v[8:9]
	v_add_f64_e64 v[137:138], v[6:7], -v[16:17]
	v_add_f64_e32 v[6:7], v[88:89], v[92:93]
	v_add_f64_e64 v[8:9], v[88:89], -v[92:93]
	v_add_f64_e32 v[135:136], v[0:1], v[4:5]
	;; [unrolled: 2-line block ×3, first 2 shown]
	v_add_f64_e64 v[4:5], v[90:91], -v[94:95]
	v_fma_f64 v[6:7], v[6:7], -0.5, v[110:111]
	s_delay_alu instid0(VALU_DEP_3) | instskip(NEXT) | instid1(VALU_DEP_2)
	v_fma_f64 v[0:1], v[0:1], -0.5, v[106:107]
	v_fma_f64 v[10:11], v[4:5], s[12:13], v[6:7]
	v_fma_f64 v[4:5], v[4:5], s[2:3], v[6:7]
	;; [unrolled: 1-line block ×3, first 2 shown]
	s_delay_alu instid0(VALU_DEP_4) | instskip(SKIP_2) | instid1(VALU_DEP_2)
	v_fma_f64 v[14:15], v[8:9], s[2:3], v[0:1]
	v_fma_f64 v[0:1], v[8:9], s[12:13], v[0:1]
	v_mul_f64_e32 v[16:17], s[2:3], v[10:11]
	v_mul_f64_e32 v[8:9], -0.5, v[0:1]
	s_delay_alu instid0(VALU_DEP_2) | instskip(SKIP_1) | instid1(VALU_DEP_3)
	v_fma_f64 v[16:17], v[14:15], 0.5, v[16:17]
	v_mul_f64_e32 v[14:15], s[12:13], v[14:15]
	v_fma_f64 v[8:9], v[4:5], s[2:3], v[8:9]
	v_mul_f64_e32 v[4:5], -0.5, v[4:5]
	s_delay_alu instid0(VALU_DEP_3) | instskip(SKIP_1) | instid1(VALU_DEP_4)
	v_fma_f64 v[10:11], v[10:11], 0.5, v[14:15]
	v_fma_f64 v[14:15], v[12:13], s[2:3], v[20:21]
	v_add_f64_e32 v[104:105], v[6:7], v[8:9]
	s_delay_alu instid0(VALU_DEP_4) | instskip(NEXT) | instid1(VALU_DEP_4)
	v_fma_f64 v[0:1], v[0:1], s[12:13], v[4:5]
	v_add_f64_e32 v[90:91], v[18:19], v[10:11]
	s_delay_alu instid0(VALU_DEP_4)
	v_add_f64_e32 v[88:89], v[14:15], v[16:17]
	v_add_f64_e64 v[92:93], v[14:15], -v[16:17]
	v_add_f64_e64 v[94:95], v[18:19], -v[10:11]
	;; [unrolled: 1-line block ×3, first 2 shown]
	v_add_f64_e32 v[106:107], v[2:3], v[0:1]
	v_add_f64_e64 v[110:111], v[2:3], -v[0:1]
	v_and_b32_e32 v0, 0xffff, v114
	s_delay_alu instid0(VALU_DEP_1) | instskip(NEXT) | instid1(VALU_DEP_1)
	v_mul_u32_u24_e32 v0, 36, v0
	v_add_lshl_u32 v222, v0, v113, 4
	v_mad_u16 v0, v115, 36, v116
	ds_store_b128 v222, v[117:120]
	ds_store_b128 v222, v[121:124] offset:288
	ds_store_b128 v222, v[96:99] offset:96
	;; [unrolled: 1-line block ×5, first 2 shown]
	v_and_b32_e32 v0, 0xffff, v0
	s_delay_alu instid0(VALU_DEP_1)
	v_lshlrev_b32_e32 v221, 4, v0
	v_mul_lo_u16 v0, v142, 57
	ds_store_b128 v221, v[125:128]
	ds_store_b128 v221, v[88:91] offset:96
	ds_store_b128 v221, v[104:107] offset:192
	;; [unrolled: 1-line block ×5, first 2 shown]
	v_lshrrev_b16 v143, 11, v0
	global_wb scope:SCOPE_SE
	s_wait_dscnt 0x0
	s_barrier_signal -1
	s_barrier_wait -1
	global_inv scope:SCOPE_SE
	v_mul_lo_u16 v0, v143, 36
	ds_load_b128 v[92:95], v218 offset:15552
	ds_load_b128 v[100:103], v218 offset:19440
	;; [unrolled: 1-line block ×4, first 2 shown]
	v_sub_nc_u16 v0, v156, v0
	ds_load_b128 v[108:111], v218 offset:23328
	ds_load_b128 v[116:119], v218 offset:27216
	;; [unrolled: 1-line block ×4, first 2 shown]
	v_and_b32_e32 v144, 0xff, v0
	ds_load_b128 v[175:178], v218 offset:11664
	v_lshlrev_b32_e32 v2, 5, v144
	global_load_b128 v[88:91], v2, s[10:11] offset:480
	s_wait_loadcnt_dscnt 0x8
	v_mul_f64_e32 v[0:1], v[94:95], v[90:91]
	s_delay_alu instid0(VALU_DEP_1) | instskip(SKIP_1) | instid1(VALU_DEP_1)
	v_fma_f64 v[122:123], v[92:93], v[88:89], -v[0:1]
	v_mul_f64_e32 v[0:1], v[92:93], v[90:91]
	v_fma_f64 v[0:1], v[94:95], v[88:89], v[0:1]
	global_load_b128 v[92:95], v2, s[10:11] offset:496
	s_wait_loadcnt_dscnt 0x6
	v_mul_f64_e32 v[2:3], v[98:99], v[94:95]
	s_delay_alu instid0(VALU_DEP_1) | instskip(SKIP_1) | instid1(VALU_DEP_2)
	v_fma_f64 v[128:129], v[96:97], v[92:93], -v[2:3]
	v_mul_f64_e32 v[2:3], v[96:97], v[94:95]
	v_add_f64_e32 v[10:11], v[122:123], v[128:129]
	s_delay_alu instid0(VALU_DEP_2) | instskip(SKIP_3) | instid1(VALU_DEP_1)
	v_fma_f64 v[134:135], v[98:99], v[92:93], v[2:3]
	v_mul_u32_u24_e32 v2, 0xe38f, v112
	ds_load_b128 v[112:115], v218 offset:38880
	v_lshrrev_b32_e32 v145, 21, v2
	v_mul_lo_u16 v2, v145, 36
	s_delay_alu instid0(VALU_DEP_1) | instskip(NEXT) | instid1(VALU_DEP_1)
	v_sub_nc_u16 v146, v192, v2
	v_lshlrev_b16 v2, 5, v146
	s_delay_alu instid0(VALU_DEP_1) | instskip(NEXT) | instid1(VALU_DEP_1)
	v_and_b32_e32 v2, 0xffff, v2
	v_add_co_u32 v2, s15, s10, v2
	s_wait_alu 0xf1ff
	v_add_co_ci_u32_e64 v3, null, s11, 0, s15
	global_load_b128 v[96:99], v[2:3], off offset:480
	v_add_f64_e32 v[12:13], v[0:1], v[134:135]
	s_wait_loadcnt 0x0
	v_mul_f64_e32 v[4:5], v[102:103], v[98:99]
	s_delay_alu instid0(VALU_DEP_1) | instskip(SKIP_1) | instid1(VALU_DEP_1)
	v_fma_f64 v[120:121], v[100:101], v[96:97], -v[4:5]
	v_mul_f64_e32 v[4:5], v[100:101], v[98:99]
	v_fma_f64 v[124:125], v[102:103], v[96:97], v[4:5]
	global_load_b128 v[100:103], v[2:3], off offset:496
	s_wait_loadcnt_dscnt 0x6
	v_mul_f64_e32 v[2:3], v[106:107], v[102:103]
	s_delay_alu instid0(VALU_DEP_1) | instskip(SKIP_1) | instid1(VALU_DEP_1)
	v_fma_f64 v[126:127], v[104:105], v[100:101], -v[2:3]
	v_mul_f64_e32 v[2:3], v[104:105], v[102:103]
	v_fma_f64 v[132:133], v[106:107], v[100:101], v[2:3]
	v_mul_u32_u24_e32 v2, 0xe38f, v158
	s_delay_alu instid0(VALU_DEP_1) | instskip(NEXT) | instid1(VALU_DEP_1)
	v_lshrrev_b32_e32 v147, 21, v2
	v_mul_lo_u16 v2, v147, 36
	s_delay_alu instid0(VALU_DEP_1) | instskip(NEXT) | instid1(VALU_DEP_1)
	v_sub_nc_u16 v148, v200, v2
	v_lshlrev_b16 v2, 5, v148
	s_delay_alu instid0(VALU_DEP_1) | instskip(NEXT) | instid1(VALU_DEP_1)
	v_and_b32_e32 v2, 0xffff, v2
	v_add_co_u32 v2, s15, s10, v2
	s_wait_alu 0xf1ff
	v_add_co_ci_u32_e64 v3, null, s11, 0, s15
	global_load_b128 v[104:107], v[2:3], off offset:480
	s_wait_loadcnt_dscnt 0x5
	v_mul_f64_e32 v[4:5], v[110:111], v[106:107]
	s_delay_alu instid0(VALU_DEP_1) | instskip(SKIP_1) | instid1(VALU_DEP_1)
	v_fma_f64 v[130:131], v[108:109], v[104:105], -v[4:5]
	v_mul_f64_e32 v[4:5], v[108:109], v[106:107]
	v_fma_f64 v[136:137], v[110:111], v[104:105], v[4:5]
	global_load_b128 v[108:111], v[2:3], off offset:496
	v_mul_u32_u24_e32 v4, 0xe38f, v157
	s_delay_alu instid0(VALU_DEP_1) | instskip(NEXT) | instid1(VALU_DEP_1)
	v_lshrrev_b32_e32 v149, 21, v4
	v_mul_lo_u16 v4, v149, 36
	s_delay_alu instid0(VALU_DEP_1) | instskip(NEXT) | instid1(VALU_DEP_1)
	v_sub_nc_u16 v150, v204, v4
	v_lshlrev_b16 v4, 5, v150
	s_delay_alu instid0(VALU_DEP_1) | instskip(NEXT) | instid1(VALU_DEP_1)
	v_and_b32_e32 v4, 0xffff, v4
	v_add_co_u32 v4, s15, s10, v4
	s_wait_alu 0xf1ff
	v_add_co_ci_u32_e64 v5, null, s11, 0, s15
	s_wait_loadcnt_dscnt 0x0
	v_mul_f64_e32 v[2:3], v[114:115], v[110:111]
	s_delay_alu instid0(VALU_DEP_1) | instskip(SKIP_1) | instid1(VALU_DEP_1)
	v_fma_f64 v[138:139], v[112:113], v[108:109], -v[2:3]
	v_mul_f64_e32 v[2:3], v[112:113], v[110:111]
	v_fma_f64 v[2:3], v[114:115], v[108:109], v[2:3]
	global_load_b128 v[112:115], v[4:5], off offset:480
	s_wait_loadcnt 0x0
	v_mul_f64_e32 v[6:7], v[118:119], v[114:115]
	s_delay_alu instid0(VALU_DEP_1) | instskip(SKIP_1) | instid1(VALU_DEP_1)
	v_fma_f64 v[140:141], v[116:117], v[112:113], -v[6:7]
	v_mul_f64_e32 v[6:7], v[116:117], v[114:115]
	v_fma_f64 v[6:7], v[118:119], v[112:113], v[6:7]
	global_load_b128 v[116:119], v[4:5], off offset:496
	s_wait_loadcnt 0x0
	v_mul_f64_e32 v[4:5], v[153:154], v[118:119]
	v_mul_f64_e32 v[8:9], v[151:152], v[118:119]
	s_delay_alu instid0(VALU_DEP_2) | instskip(NEXT) | instid1(VALU_DEP_2)
	v_fma_f64 v[4:5], v[151:152], v[116:117], -v[4:5]
	v_fma_f64 v[8:9], v[153:154], v[116:117], v[8:9]
	ds_load_b128 v[151:154], v218
	s_wait_dscnt 0x0
	v_add_f64_e32 v[14:15], v[153:154], v[0:1]
	v_fma_f64 v[10:11], v[10:11], -0.5, v[151:152]
	v_add_f64_e64 v[0:1], v[0:1], -v[134:135]
	v_fma_f64 v[12:13], v[12:13], -0.5, v[153:154]
	v_add_f64_e32 v[16:17], v[151:152], v[122:123]
	v_add_f64_e32 v[153:154], v[14:15], v[134:135]
	v_add_f64_e64 v[14:15], v[122:123], -v[128:129]
	v_fma_f64 v[159:160], v[0:1], s[2:3], v[10:11]
	v_fma_f64 v[163:164], v[0:1], s[12:13], v[10:11]
	v_add_f64_e32 v[0:1], v[120:121], v[126:127]
	v_add_f64_e32 v[10:11], v[124:125], v[132:133]
	;; [unrolled: 1-line block ×3, first 2 shown]
	v_add_f64_e64 v[16:17], v[124:125], -v[132:133]
	v_fma_f64 v[161:162], v[14:15], s[12:13], v[12:13]
	v_fma_f64 v[165:166], v[14:15], s[2:3], v[12:13]
	v_add_f64_e32 v[12:13], v[169:170], v[124:125]
	v_fma_f64 v[0:1], v[0:1], -0.5, v[167:168]
	v_add_f64_e32 v[14:15], v[167:168], v[120:121]
	v_fma_f64 v[10:11], v[10:11], -0.5, v[169:170]
	ds_load_b128 v[167:170], v218 offset:7776
	v_add_f64_e32 v[124:125], v[12:13], v[132:133]
	v_add_f64_e64 v[12:13], v[120:121], -v[126:127]
	v_add_f64_e32 v[122:123], v[14:15], v[126:127]
	v_fma_f64 v[126:127], v[16:17], s[2:3], v[0:1]
	v_fma_f64 v[132:133], v[16:17], s[12:13], v[0:1]
	v_add_f64_e32 v[0:1], v[130:131], v[138:139]
	v_add_f64_e64 v[16:17], v[136:137], -v[2:3]
	s_wait_dscnt 0x0
	v_add_f64_e32 v[14:15], v[167:168], v[130:131]
	v_fma_f64 v[128:129], v[12:13], s[12:13], v[10:11]
	v_fma_f64 v[134:135], v[12:13], s[2:3], v[10:11]
	v_add_f64_e32 v[10:11], v[136:137], v[2:3]
	v_add_f64_e32 v[12:13], v[169:170], v[136:137]
	v_fma_f64 v[0:1], v[0:1], -0.5, v[167:168]
	v_add_f64_e32 v[167:168], v[14:15], v[138:139]
	s_delay_alu instid0(VALU_DEP_4) | instskip(NEXT) | instid1(VALU_DEP_4)
	v_fma_f64 v[10:11], v[10:11], -0.5, v[169:170]
	v_add_f64_e32 v[169:170], v[12:13], v[2:3]
	v_add_f64_e64 v[2:3], v[130:131], -v[138:139]
	v_fma_f64 v[136:137], v[16:17], s[2:3], v[0:1]
	v_fma_f64 v[171:172], v[16:17], s[12:13], v[0:1]
	v_add_f64_e32 v[0:1], v[140:141], v[4:5]
	v_add_f64_e32 v[12:13], v[175:176], v[140:141]
	v_lshrrev_b16 v16, 2, v200
	s_delay_alu instid0(VALU_DEP_1) | instskip(NEXT) | instid1(VALU_DEP_1)
	v_and_b32_e32 v16, 0xffff, v16
	v_mul_u32_u24_e32 v16, 0x4bdb, v16
	s_delay_alu instid0(VALU_DEP_1) | instskip(NEXT) | instid1(VALU_DEP_1)
	v_lshrrev_b32_e32 v39, 19, v16
	v_mul_lo_u16 v16, 0x6c, v39
	s_delay_alu instid0(VALU_DEP_1) | instskip(NEXT) | instid1(VALU_DEP_1)
	v_sub_nc_u16 v40, v200, v16
	v_lshlrev_b16 v16, 5, v40
	v_fma_f64 v[138:139], v[2:3], s[12:13], v[10:11]
	v_fma_f64 v[173:174], v[2:3], s[2:3], v[10:11]
	v_add_f64_e32 v[2:3], v[6:7], v[8:9]
	v_fma_f64 v[0:1], v[0:1], -0.5, v[175:176]
	v_add_f64_e32 v[10:11], v[177:178], v[6:7]
	v_add_f64_e64 v[6:7], v[6:7], -v[8:9]
	v_add_f64_e32 v[175:176], v[12:13], v[4:5]
	v_add_f64_e64 v[4:5], v[140:141], -v[4:5]
	v_and_b32_e32 v16, 0xffff, v16
	v_fma_f64 v[2:3], v[2:3], -0.5, v[177:178]
	v_add_f64_e32 v[177:178], v[10:11], v[8:9]
	v_fma_f64 v[179:180], v[6:7], s[2:3], v[0:1]
	v_fma_f64 v[183:184], v[6:7], s[12:13], v[0:1]
	v_and_b32_e32 v0, 0xffff, v143
	v_lshrrev_b16 v8, 2, v192
	s_delay_alu instid0(VALU_DEP_2) | instskip(NEXT) | instid1(VALU_DEP_2)
	v_mul_u32_u24_e32 v0, 0x6c, v0
	v_and_b32_e32 v8, 0xffff, v8
	s_delay_alu instid0(VALU_DEP_2) | instskip(NEXT) | instid1(VALU_DEP_2)
	v_add_lshl_u32 v0, v0, v144, 4
	v_mul_u32_u24_e32 v8, 0x4bdb, v8
	scratch_store_b32 off, v0, off offset:180 ; 4-byte Folded Spill
	global_wb scope:SCOPE_SE
	s_wait_storecnt 0x0
	s_barrier_signal -1
	s_barrier_wait -1
	global_inv scope:SCOPE_SE
	ds_store_b128 v0, v[151:154]
	ds_store_b128 v0, v[159:162] offset:576
	ds_store_b128 v0, v[163:166] offset:1152
	v_mad_u16 v0, 0x6c, v145, v146
	v_lshrrev_b32_e32 v37, 19, v8
	s_delay_alu instid0(VALU_DEP_2) | instskip(NEXT) | instid1(VALU_DEP_2)
	v_and_b32_e32 v0, 0xffff, v0
	v_mul_lo_u16 v8, 0x6c, v37
	s_delay_alu instid0(VALU_DEP_2) | instskip(NEXT) | instid1(VALU_DEP_2)
	v_lshlrev_b32_e32 v0, 4, v0
	v_sub_nc_u16 v38, v192, v8
	v_fma_f64 v[181:182], v[4:5], s[12:13], v[2:3]
	v_fma_f64 v[185:186], v[4:5], s[2:3], v[2:3]
	scratch_store_b32 off, v0, off offset:176 ; 4-byte Folded Spill
	ds_store_b128 v0, v[122:125]
	ds_store_b128 v0, v[126:129] offset:576
	ds_store_b128 v0, v[132:135] offset:1152
	v_mad_u16 v0, 0x6c, v147, v148
	v_lshlrev_b16 v8, 5, v38
	s_delay_alu instid0(VALU_DEP_2) | instskip(NEXT) | instid1(VALU_DEP_2)
	v_and_b32_e32 v0, 0xffff, v0
	v_and_b32_e32 v8, 0xffff, v8
	s_delay_alu instid0(VALU_DEP_2)
	v_lshlrev_b32_e32 v255, 4, v0
	v_mad_u16 v0, 0x6c, v149, v150
	ds_store_b128 v255, v[167:170]
	ds_store_b128 v255, v[136:139] offset:576
	ds_store_b128 v255, v[171:174] offset:1152
	v_and_b32_e32 v0, 0xffff, v0
	v_add_co_u32 v8, s15, s10, v8
	s_wait_alu 0xf1ff
	v_add_co_ci_u32_e64 v9, null, s11, 0, s15
	s_delay_alu instid0(VALU_DEP_3)
	v_lshlrev_b32_e32 v0, 4, v0
	v_add_co_u32 v16, s15, s10, v16
	s_wait_alu 0xf1ff
	v_add_co_ci_u32_e64 v17, null, s11, 0, s15
	scratch_store_b32 off, v0, off offset:172 ; 4-byte Folded Spill
	ds_store_b128 v0, v[175:178]
	ds_store_b128 v0, v[179:182] offset:576
	ds_store_b128 v0, v[183:186] offset:1152
	v_mul_lo_u16 v0, v142, 19
	global_wb scope:SCOPE_SE
	s_wait_storecnt_dscnt 0x0
	s_barrier_signal -1
	s_barrier_wait -1
	global_inv scope:SCOPE_SE
	v_lshrrev_b16 v36, 11, v0
	ds_load_b128 v[124:127], v218 offset:15552
	ds_load_b128 v[205:208], v218 offset:11664
	;; [unrolled: 1-line block ×4, first 2 shown]
	v_mul_lo_u16 v0, 0x6c, v36
	ds_load_b128 v[132:135], v218 offset:19440
	ds_load_b128 v[140:143], v218 offset:23328
	;; [unrolled: 1-line block ×4, first 2 shown]
	v_sub_nc_u16 v0, v156, v0
	v_add_co_u32 v24, s15, s10, v24
	s_wait_alu 0xf1ff
	v_add_co_ci_u32_e64 v25, null, s11, 0, s15
	s_delay_alu instid0(VALU_DEP_3)
	v_and_b32_e32 v152, 0xff, v0
	ds_load_b128 v[159:162], v218 offset:42768
	ds_load_b128 v[171:174], v218 offset:3888
	;; [unrolled: 1-line block ×3, first 2 shown]
	v_lshlrev_b32_e32 v4, 5, v152
	global_load_b128 v[120:123], v4, s[10:11] offset:1632
	s_wait_loadcnt_dscnt 0xa
	v_mul_f64_e32 v[0:1], v[126:127], v[122:123]
	v_mul_f64_e32 v[2:3], v[124:125], v[122:123]
	s_delay_alu instid0(VALU_DEP_2) | instskip(NEXT) | instid1(VALU_DEP_2)
	v_fma_f64 v[0:1], v[124:125], v[120:121], -v[0:1]
	v_fma_f64 v[2:3], v[126:127], v[120:121], v[2:3]
	global_load_b128 v[124:127], v4, s[10:11] offset:1648
	s_wait_loadcnt_dscnt 0x8
	v_mul_f64_e32 v[4:5], v[130:131], v[126:127]
	v_mul_f64_e32 v[6:7], v[128:129], v[126:127]
	s_delay_alu instid0(VALU_DEP_2) | instskip(NEXT) | instid1(VALU_DEP_2)
	v_fma_f64 v[4:5], v[128:129], v[124:125], -v[4:5]
	v_fma_f64 v[6:7], v[130:131], v[124:125], v[6:7]
	global_load_b128 v[128:131], v[8:9], off offset:1632
	v_add_f64_e32 v[32:33], v[0:1], v[4:5]
	v_add_f64_e32 v[34:35], v[2:3], v[6:7]
	s_wait_loadcnt_dscnt 0x6
	v_mul_f64_e32 v[10:11], v[134:135], v[130:131]
	v_mul_f64_e32 v[12:13], v[132:133], v[130:131]
	s_delay_alu instid0(VALU_DEP_2) | instskip(NEXT) | instid1(VALU_DEP_2)
	v_fma_f64 v[10:11], v[132:133], v[128:129], -v[10:11]
	v_fma_f64 v[12:13], v[134:135], v[128:129], v[12:13]
	global_load_b128 v[132:135], v[8:9], off offset:1648
	s_wait_loadcnt_dscnt 0x4
	v_mul_f64_e32 v[8:9], v[138:139], v[134:135]
	v_mul_f64_e32 v[14:15], v[136:137], v[134:135]
	s_delay_alu instid0(VALU_DEP_2) | instskip(NEXT) | instid1(VALU_DEP_2)
	v_fma_f64 v[8:9], v[136:137], v[132:133], -v[8:9]
	v_fma_f64 v[14:15], v[138:139], v[132:133], v[14:15]
	global_load_b128 v[136:139], v[16:17], off offset:1632
	s_wait_loadcnt 0x0
	v_mul_f64_e32 v[18:19], v[142:143], v[138:139]
	v_mul_f64_e32 v[20:21], v[140:141], v[138:139]
	s_delay_alu instid0(VALU_DEP_2) | instskip(NEXT) | instid1(VALU_DEP_2)
	v_fma_f64 v[18:19], v[140:141], v[136:137], -v[18:19]
	v_fma_f64 v[20:21], v[142:143], v[136:137], v[20:21]
	global_load_b128 v[140:143], v[16:17], off offset:1648
	s_wait_loadcnt_dscnt 0x3
	v_mul_f64_e32 v[16:17], v[146:147], v[142:143]
	v_mul_f64_e32 v[22:23], v[144:145], v[142:143]
	s_delay_alu instid0(VALU_DEP_2) | instskip(NEXT) | instid1(VALU_DEP_2)
	v_fma_f64 v[16:17], v[144:145], v[140:141], -v[16:17]
	v_fma_f64 v[22:23], v[146:147], v[140:141], v[22:23]
	global_load_b128 v[144:147], v[24:25], off offset:1632
	s_wait_loadcnt 0x0
	v_mul_f64_e32 v[26:27], v[150:151], v[146:147]
	v_mul_f64_e32 v[28:29], v[148:149], v[146:147]
	s_delay_alu instid0(VALU_DEP_2) | instskip(NEXT) | instid1(VALU_DEP_2)
	v_fma_f64 v[26:27], v[148:149], v[144:145], -v[26:27]
	v_fma_f64 v[28:29], v[150:151], v[144:145], v[28:29]
	global_load_b128 v[148:151], v[24:25], off offset:1648
	s_wait_loadcnt_dscnt 0x2
	v_mul_f64_e32 v[24:25], v[161:162], v[150:151]
	v_mul_f64_e32 v[30:31], v[159:160], v[150:151]
	s_delay_alu instid0(VALU_DEP_2) | instskip(NEXT) | instid1(VALU_DEP_2)
	v_fma_f64 v[24:25], v[159:160], v[148:149], -v[24:25]
	v_fma_f64 v[30:31], v[161:162], v[148:149], v[30:31]
	ds_load_b128 v[159:162], v218
	global_wb scope:SCOPE_SE
	s_wait_dscnt 0x0
	s_barrier_signal -1
	s_barrier_wait -1
	global_inv scope:SCOPE_SE
	v_fma_f64 v[32:33], v[32:33], -0.5, v[159:160]
	v_fma_f64 v[34:35], v[34:35], -0.5, v[161:162]
	v_add_f64_e32 v[159:160], v[159:160], v[0:1]
	v_add_f64_e64 v[0:1], v[0:1], -v[4:5]
	v_add_f64_e32 v[153:154], v[161:162], v[2:3]
	v_add_f64_e64 v[2:3], v[2:3], -v[6:7]
	s_delay_alu instid0(VALU_DEP_4) | instskip(NEXT) | instid1(VALU_DEP_4)
	v_add_f64_e32 v[159:160], v[159:160], v[4:5]
	v_fma_f64 v[165:166], v[0:1], s[12:13], v[34:35]
	v_fma_f64 v[169:170], v[0:1], s[2:3], v[34:35]
	v_add_f64_e32 v[0:1], v[10:11], v[8:9]
	v_fma_f64 v[163:164], v[2:3], s[2:3], v[32:33]
	v_fma_f64 v[167:168], v[2:3], s[12:13], v[32:33]
	v_add_f64_e32 v[2:3], v[12:13], v[14:15]
	v_add_f64_e32 v[4:5], v[173:174], v[12:13]
	v_add_f64_e64 v[12:13], v[12:13], -v[14:15]
	v_add_f64_e32 v[161:162], v[153:154], v[6:7]
	v_add_f64_e32 v[6:7], v[171:172], v[10:11]
	v_fma_f64 v[0:1], v[0:1], -0.5, v[171:172]
	v_fma_f64 v[2:3], v[2:3], -0.5, v[173:174]
	v_add_f64_e32 v[173:174], v[4:5], v[14:15]
	v_add_f64_e64 v[4:5], v[10:11], -v[8:9]
	v_add_f64_e32 v[171:172], v[6:7], v[8:9]
	v_add_f64_e64 v[8:9], v[20:21], -v[22:23]
	v_add_f64_e32 v[6:7], v[183:184], v[18:19]
	v_fma_f64 v[175:176], v[12:13], s[2:3], v[0:1]
	v_fma_f64 v[179:180], v[12:13], s[12:13], v[0:1]
	v_add_f64_e32 v[0:1], v[18:19], v[16:17]
	v_fma_f64 v[177:178], v[4:5], s[12:13], v[2:3]
	v_fma_f64 v[181:182], v[4:5], s[2:3], v[2:3]
	v_add_f64_e32 v[2:3], v[20:21], v[22:23]
	v_add_f64_e32 v[4:5], v[185:186], v[20:21]
	v_fma_f64 v[0:1], v[0:1], -0.5, v[183:184]
	v_add_f64_e32 v[183:184], v[6:7], v[16:17]
	v_add_f64_e32 v[6:7], v[205:206], v[26:27]
	v_fma_f64 v[2:3], v[2:3], -0.5, v[185:186]
	v_add_f64_e32 v[185:186], v[4:5], v[22:23]
	v_add_f64_e64 v[4:5], v[18:19], -v[16:17]
	v_mul_u32_u24_e32 v17, 0x6523, v158
	s_delay_alu instid0(VALU_DEP_1) | instskip(NEXT) | instid1(VALU_DEP_1)
	v_lshrrev_b32_e32 v35, 23, v17
	v_mul_lo_u16 v17, 0x144, v35
	v_fma_f64 v[187:188], v[8:9], s[2:3], v[0:1]
	v_fma_f64 v[193:194], v[8:9], s[12:13], v[0:1]
	v_add_f64_e32 v[0:1], v[26:27], v[24:25]
	v_add_f64_e64 v[8:9], v[28:29], -v[30:31]
	v_fma_f64 v[189:190], v[4:5], s[12:13], v[2:3]
	v_fma_f64 v[195:196], v[4:5], s[2:3], v[2:3]
	v_add_f64_e32 v[2:3], v[28:29], v[30:31]
	v_add_f64_e32 v[4:5], v[207:208], v[28:29]
	v_fma_f64 v[0:1], v[0:1], -0.5, v[205:206]
	v_add_f64_e32 v[205:206], v[6:7], v[24:25]
	s_delay_alu instid0(VALU_DEP_4) | instskip(NEXT) | instid1(VALU_DEP_4)
	v_fma_f64 v[2:3], v[2:3], -0.5, v[207:208]
	v_add_f64_e32 v[207:208], v[4:5], v[30:31]
	v_add_f64_e64 v[4:5], v[26:27], -v[24:25]
	v_mul_u32_u24_e32 v25, 0x6523, v157
	s_delay_alu instid0(VALU_DEP_1) | instskip(NEXT) | instid1(VALU_DEP_1)
	v_lshrrev_b32_e32 v25, 23, v25
	v_mul_lo_u16 v25, 0x144, v25
	v_fma_f64 v[209:210], v[8:9], s[2:3], v[0:1]
	v_fma_f64 v[234:235], v[8:9], s[12:13], v[0:1]
	v_and_b32_e32 v0, 0xffff, v36
	v_add_co_u32 v8, s15, 0xffffffaf, v43
	v_add_co_ci_u32_e64 v9, null, 0, 0, s14
	s_delay_alu instid0(VALU_DEP_3)
	v_mul_u32_u24_e32 v0, 0x144, v0
	s_wait_alu 0xf1ff
	v_add_co_ci_u32_e64 v10, null, 0, -1, s15
	v_fma_f64 v[211:212], v[4:5], s[12:13], v[2:3]
	v_fma_f64 v[236:237], v[4:5], s[2:3], v[2:3]
	v_add_lshl_u32 v233, v0, v152, 4
	v_mad_u16 v0, 0x144, v37, v38
	ds_store_b128 v233, v[159:162]
	ds_store_b128 v233, v[163:166] offset:1728
	ds_store_b128 v233, v[167:170] offset:3456
	v_and_b32_e32 v0, 0xffff, v0
	v_dual_cndmask_b32 v9, v10, v9 :: v_dual_lshlrev_b32 v168, 5, v43
	v_cndmask_b32_e32 v8, v8, v192, vcc_lo
	v_sub_nc_u16 v36, v200, v17
	s_delay_alu instid0(VALU_DEP_4)
	v_lshlrev_b32_e32 v231, 4, v0
	v_mad_u16 v0, 0x144, v39, v40
	ds_store_b128 v231, v[171:174]
	ds_store_b128 v231, v[175:178] offset:1728
	ds_store_b128 v231, v[179:182] offset:3456
	v_and_b32_e32 v0, 0xffff, v0
	v_lshlrev_b64_e32 v[9:10], 5, v[8:9]
	v_lshlrev_b16 v17, 5, v36
	v_sub_nc_u16 v37, v204, v25
	s_delay_alu instid0(VALU_DEP_4)
	v_lshlrev_b32_e32 v254, 4, v0
	v_mad_u16 v0, 0x144, v41, v42
	ds_store_b128 v254, v[183:186]
	ds_store_b128 v254, v[187:190] offset:1728
	ds_store_b128 v254, v[193:196] offset:3456
	v_and_b32_e32 v0, 0xffff, v0
	v_add_co_u32 v9, vcc_lo, s10, v9
	s_wait_alu 0xfffd
	v_add_co_ci_u32_e32 v10, vcc_lo, s11, v10, vcc_lo
	s_delay_alu instid0(VALU_DEP_3)
	v_lshlrev_b32_e32 v217, 4, v0
	ds_store_b128 v217, v[205:208]
	ds_store_b128 v217, v[209:212] offset:1728
	ds_store_b128 v217, v[234:237] offset:3456
	global_wb scope:SCOPE_SE
	s_wait_dscnt 0x0
	s_barrier_signal -1
	s_barrier_wait -1
	global_inv scope:SCOPE_SE
	global_load_b128 v[152:155], v168, s[10:11] offset:5088
	ds_load_b128 v[159:162], v218 offset:15552
	ds_load_b128 v[223:226], v218 offset:11664
	;; [unrolled: 1-line block ×8, first 2 shown]
	v_and_b32_e32 v17, 0xffff, v17
	v_lshlrev_b16 v25, 5, v37
	ds_load_b128 v[193:196], v218 offset:42768
	ds_load_b128 v[234:237], v218 offset:3888
	v_cmp_lt_u16_e64 vcc_lo, 0x50, v156
	v_add_co_u32 v17, s14, s10, v17
	s_wait_alu 0xf1ff
	v_add_co_ci_u32_e64 v18, null, s11, 0, s14
	v_and_b32_e32 v25, 0xffff, v25
	scratch_store_b32 off, v43, off offset:168 ; 4-byte Folded Spill
	ds_load_b128 v[246:249], v218 offset:7776
	v_add_co_u32 v25, s14, s10, v25
	s_wait_alu 0xf1ff
	v_add_co_ci_u32_e64 v26, null, s11, 0, s14
	s_wait_loadcnt_dscnt 0xa
	v_mul_f64_e32 v[0:1], v[161:162], v[154:155]
	v_mul_f64_e32 v[2:3], v[159:160], v[154:155]
	s_delay_alu instid0(VALU_DEP_2) | instskip(NEXT) | instid1(VALU_DEP_2)
	v_fma_f64 v[0:1], v[159:160], v[152:153], -v[0:1]
	v_fma_f64 v[2:3], v[161:162], v[152:153], v[2:3]
	global_load_b128 v[160:163], v168, s[10:11] offset:5104
	s_wait_loadcnt_dscnt 0x8
	v_mul_f64_e32 v[4:5], v[166:167], v[162:163]
	v_mul_f64_e32 v[6:7], v[164:165], v[162:163]
	s_delay_alu instid0(VALU_DEP_2) | instskip(NEXT) | instid1(VALU_DEP_2)
	v_fma_f64 v[4:5], v[164:165], v[160:161], -v[4:5]
	v_fma_f64 v[6:7], v[166:167], v[160:161], v[6:7]
	global_load_b128 v[164:167], v[9:10], off offset:5088
	v_add_f64_e32 v[33:34], v[0:1], v[4:5]
	v_add_f64_e32 v[157:158], v[2:3], v[6:7]
	s_wait_loadcnt_dscnt 0x6
	v_mul_f64_e32 v[13:14], v[169:170], v[166:167]
	v_mul_f64_e32 v[11:12], v[171:172], v[166:167]
	s_delay_alu instid0(VALU_DEP_2)
	v_fma_f64 v[13:14], v[171:172], v[164:165], v[13:14]
	global_load_b128 v[172:175], v[9:10], off offset:5104
	v_fma_f64 v[11:12], v[169:170], v[164:165], -v[11:12]
	s_wait_loadcnt_dscnt 0x4
	v_mul_f64_e32 v[9:10], v[178:179], v[174:175]
	v_mul_f64_e32 v[15:16], v[176:177], v[174:175]
	s_delay_alu instid0(VALU_DEP_2) | instskip(NEXT) | instid1(VALU_DEP_2)
	v_fma_f64 v[9:10], v[176:177], v[172:173], -v[9:10]
	v_fma_f64 v[15:16], v[178:179], v[172:173], v[15:16]
	global_load_b128 v[176:179], v[17:18], off offset:5088
	s_wait_loadcnt 0x0
	v_mul_f64_e32 v[19:20], v[182:183], v[178:179]
	v_mul_f64_e32 v[21:22], v[180:181], v[178:179]
	s_delay_alu instid0(VALU_DEP_2) | instskip(NEXT) | instid1(VALU_DEP_2)
	v_fma_f64 v[19:20], v[180:181], v[176:177], -v[19:20]
	v_fma_f64 v[21:22], v[182:183], v[176:177], v[21:22]
	global_load_b128 v[180:183], v[17:18], off offset:5104
	s_wait_loadcnt_dscnt 0x3
	v_mul_f64_e32 v[17:18], v[186:187], v[182:183]
	v_mul_f64_e32 v[23:24], v[184:185], v[182:183]
	s_delay_alu instid0(VALU_DEP_2) | instskip(NEXT) | instid1(VALU_DEP_2)
	v_fma_f64 v[17:18], v[184:185], v[180:181], -v[17:18]
	v_fma_f64 v[23:24], v[186:187], v[180:181], v[23:24]
	global_load_b128 v[184:187], v[25:26], off offset:5088
	s_wait_loadcnt 0x0
	v_mul_f64_e32 v[27:28], v[190:191], v[186:187]
	v_mul_f64_e32 v[29:30], v[188:189], v[186:187]
	s_delay_alu instid0(VALU_DEP_2) | instskip(NEXT) | instid1(VALU_DEP_2)
	v_fma_f64 v[27:28], v[188:189], v[184:185], -v[27:28]
	v_fma_f64 v[29:30], v[190:191], v[184:185], v[29:30]
	global_load_b128 v[188:191], v[25:26], off offset:5104
	s_wait_loadcnt_dscnt 0x2
	v_mul_f64_e32 v[25:26], v[195:196], v[190:191]
	v_mul_f64_e32 v[31:32], v[193:194], v[190:191]
	s_delay_alu instid0(VALU_DEP_2) | instskip(NEXT) | instid1(VALU_DEP_2)
	v_fma_f64 v[25:26], v[193:194], v[188:189], -v[25:26]
	v_fma_f64 v[31:32], v[195:196], v[188:189], v[31:32]
	ds_load_b128 v[193:196], v218
	global_wb scope:SCOPE_SE
	s_wait_storecnt_dscnt 0x0
	s_barrier_signal -1
	s_barrier_wait -1
	global_inv scope:SCOPE_SE
	v_fma_f64 v[33:34], v[33:34], -0.5, v[193:194]
	v_fma_f64 v[157:158], v[157:158], -0.5, v[195:196]
	v_add_f64_e32 v[193:194], v[193:194], v[0:1]
	v_add_f64_e64 v[0:1], v[0:1], -v[4:5]
	v_add_f64_e32 v[169:170], v[195:196], v[2:3]
	v_add_f64_e64 v[2:3], v[2:3], -v[6:7]
	s_delay_alu instid0(VALU_DEP_4) | instskip(NEXT) | instid1(VALU_DEP_4)
	v_add_f64_e32 v[193:194], v[193:194], v[4:5]
	v_fma_f64 v[207:208], v[0:1], s[12:13], v[157:158]
	v_fma_f64 v[211:212], v[0:1], s[2:3], v[157:158]
	v_add_f64_e32 v[0:1], v[11:12], v[9:10]
	v_fma_f64 v[205:206], v[2:3], s[2:3], v[33:34]
	v_fma_f64 v[209:210], v[2:3], s[12:13], v[33:34]
	v_add_f64_e32 v[2:3], v[13:14], v[15:16]
	v_add_f64_e32 v[4:5], v[236:237], v[13:14]
	v_add_f64_e64 v[13:14], v[13:14], -v[15:16]
	v_add_f64_e32 v[195:196], v[169:170], v[6:7]
	v_add_f64_e32 v[6:7], v[234:235], v[11:12]
	ds_store_b128 v218, v[193:196]
	ds_store_b128 v218, v[205:208] offset:5184
	ds_store_b128 v218, v[209:212] offset:10368
	v_fma_f64 v[0:1], v[0:1], -0.5, v[234:235]
	v_fma_f64 v[2:3], v[2:3], -0.5, v[236:237]
	v_add_f64_e32 v[236:237], v[4:5], v[15:16]
	v_add_f64_e64 v[4:5], v[11:12], -v[9:10]
	v_add_f64_e32 v[234:235], v[6:7], v[9:10]
	v_add_f64_e64 v[9:10], v[21:22], -v[23:24]
	;; [unrolled: 2-line block ×3, first 2 shown]
	v_lshlrev_b32_e32 v16, 5, v192
	v_fma_f64 v[238:239], v[13:14], s[2:3], v[0:1]
	v_fma_f64 v[242:243], v[13:14], s[12:13], v[0:1]
	v_add_f64_e32 v[0:1], v[19:20], v[17:18]
	v_fma_f64 v[240:241], v[4:5], s[12:13], v[2:3]
	v_fma_f64 v[244:245], v[4:5], s[2:3], v[2:3]
	v_add_f64_e32 v[2:3], v[21:22], v[23:24]
	v_add_f64_e32 v[4:5], v[248:249], v[21:22]
	v_lshlrev_b32_e32 v22, 5, v200
	v_fma_f64 v[0:1], v[0:1], -0.5, v[246:247]
	v_add_f64_e32 v[246:247], v[6:7], v[17:18]
	v_fma_f64 v[2:3], v[2:3], -0.5, v[248:249]
	v_add_f64_e32 v[248:249], v[4:5], v[23:24]
	v_add_f64_e64 v[4:5], v[19:20], -v[17:18]
	v_fma_f64 v[250:251], v[9:10], s[2:3], v[0:1]
	v_fma_f64 v[213:214], v[9:10], s[12:13], v[0:1]
	v_add_f64_e32 v[0:1], v[27:28], v[25:26]
	v_add_f64_e64 v[9:10], v[29:30], -v[31:32]
	v_fma_f64 v[252:253], v[4:5], s[12:13], v[2:3]
	v_fma_f64 v[215:216], v[4:5], s[2:3], v[2:3]
	v_add_f64_e32 v[4:5], v[223:224], v[27:28]
	v_fma_f64 v[2:3], v[0:1], -0.5, v[223:224]
	v_add_f64_e32 v[0:1], v[29:30], v[31:32]
	s_delay_alu instid0(VALU_DEP_3) | instskip(NEXT) | instid1(VALU_DEP_3)
	v_add_f64_e32 v[223:224], v[4:5], v[25:26]
	v_fma_f64 v[4:5], v[9:10], s[12:13], v[2:3]
	s_delay_alu instid0(VALU_DEP_3) | instskip(SKIP_1) | instid1(VALU_DEP_1)
	v_fma_f64 v[6:7], v[0:1], -0.5, v[225:226]
	v_add_f64_e32 v[0:1], v[225:226], v[29:30]
	v_add_f64_e32 v[225:226], v[0:1], v[31:32]
	v_fma_f64 v[0:1], v[9:10], s[2:3], v[2:3]
	s_delay_alu instid0(VALU_DEP_4) | instskip(SKIP_3) | instid1(VALU_DEP_1)
	v_fma_f64 v[2:3], v[11:12], s[12:13], v[6:7]
	v_fma_f64 v[6:7], v[11:12], s[2:3], v[6:7]
	s_wait_alu 0xfffd
	v_cndmask_b32_e64 v9, 0, 0x3cc, vcc_lo
	v_add_lshl_u32 v232, v8, v9, 4
	v_mad_u16 v8, 0x3cc, v35, v36
	ds_store_b128 v232, v[234:237]
	ds_store_b128 v232, v[238:241] offset:5184
	ds_store_b128 v232, v[242:245] offset:10368
	v_and_b32_e32 v8, 0xffff, v8
	s_delay_alu instid0(VALU_DEP_1)
	v_lshlrev_b32_e32 v234, 4, v8
	v_and_b32_e32 v8, 0xffff, v37
	ds_store_b128 v234, v[246:249]
	ds_store_b128 v234, v[250:253] offset:5184
	ds_store_b128 v234, v[213:216] offset:10368
	v_lshlrev_b32_e32 v216, 4, v8
	ds_store_b128 v216, v[223:226] offset:31104
	ds_store_b128 v216, v[0:3] offset:36288
	;; [unrolled: 1-line block ×3, first 2 shown]
	global_wb scope:SCOPE_SE
	s_wait_dscnt 0x0
	s_barrier_signal -1
	s_barrier_wait -1
	global_inv scope:SCOPE_SE
	s_clause 0x3
	global_load_b128 v[156:159], v168, s[10:11] offset:15456
	global_load_b128 v[168:171], v168, s[10:11] offset:15472
	;; [unrolled: 1-line block ×4, first 2 shown]
	ds_load_b128 v[0:3], v218 offset:15552
	s_clause 0x1
	global_load_b128 v[200:203], v22, s[10:11] offset:15456
	global_load_b128 v[208:211], v22, s[10:11] offset:15472
	v_lshlrev_b32_e32 v22, 5, v204
	ds_load_b128 v[235:238], v218 offset:3888
	ds_load_b128 v[247:250], v218 offset:7776
	s_clause 0x1
	global_load_b128 v[204:207], v22, s[10:11] offset:15456
	global_load_b128 v[212:215], v22, s[10:11] offset:15472
	s_wait_loadcnt_dscnt 0x702
	v_mul_f64_e32 v[4:5], v[2:3], v[158:159]
	s_delay_alu instid0(VALU_DEP_1) | instskip(SKIP_1) | instid1(VALU_DEP_1)
	v_fma_f64 v[4:5], v[0:1], v[156:157], -v[4:5]
	v_mul_f64_e32 v[0:1], v[0:1], v[158:159]
	v_fma_f64 v[6:7], v[2:3], v[156:157], v[0:1]
	ds_load_b128 v[0:3], v218 offset:31104
	s_wait_loadcnt_dscnt 0x600
	v_mul_f64_e32 v[8:9], v[2:3], v[170:171]
	s_delay_alu instid0(VALU_DEP_1) | instskip(SKIP_1) | instid1(VALU_DEP_1)
	v_fma_f64 v[8:9], v[0:1], v[168:169], -v[8:9]
	v_mul_f64_e32 v[0:1], v[0:1], v[170:171]
	v_fma_f64 v[10:11], v[2:3], v[168:169], v[0:1]
	ds_load_b128 v[0:3], v218 offset:19440
	s_wait_loadcnt_dscnt 0x500
	v_mul_f64_e32 v[12:13], v[2:3], v[194:195]
	v_add_f64_e32 v[36:37], v[6:7], v[10:11]
	s_delay_alu instid0(VALU_DEP_2) | instskip(SKIP_1) | instid1(VALU_DEP_1)
	v_fma_f64 v[12:13], v[0:1], v[192:193], -v[12:13]
	v_mul_f64_e32 v[0:1], v[0:1], v[194:195]
	v_fma_f64 v[14:15], v[2:3], v[192:193], v[0:1]
	ds_load_b128 v[0:3], v218 offset:34992
	s_wait_loadcnt_dscnt 0x400
	v_mul_f64_e32 v[16:17], v[2:3], v[198:199]
	s_delay_alu instid0(VALU_DEP_1) | instskip(SKIP_1) | instid1(VALU_DEP_1)
	v_fma_f64 v[16:17], v[0:1], v[196:197], -v[16:17]
	v_mul_f64_e32 v[0:1], v[0:1], v[198:199]
	v_fma_f64 v[18:19], v[2:3], v[196:197], v[0:1]
	ds_load_b128 v[0:3], v218 offset:23328
	s_wait_loadcnt_dscnt 0x300
	v_mul_f64_e32 v[20:21], v[2:3], v[202:203]
	s_delay_alu instid0(VALU_DEP_1) | instskip(SKIP_1) | instid1(VALU_DEP_1)
	;; [unrolled: 7-line block ×4, first 2 shown]
	v_fma_f64 v[251:252], v[0:1], v[204:205], -v[20:21]
	v_mul_f64_e32 v[0:1], v[0:1], v[206:207]
	v_fma_f64 v[24:25], v[2:3], v[204:205], v[0:1]
	ds_load_b128 v[0:3], v218 offset:42768
	s_wait_loadcnt_dscnt 0x0
	v_mul_f64_e32 v[22:23], v[2:3], v[214:215]
	s_delay_alu instid0(VALU_DEP_1) | instskip(SKIP_2) | instid1(VALU_DEP_2)
	v_fma_f64 v[26:27], v[0:1], v[212:213], -v[22:23]
	v_mul_f64_e32 v[0:1], v[0:1], v[214:215]
	v_add_f64_e32 v[22:23], v[4:5], v[8:9]
	v_fma_f64 v[20:21], v[2:3], v[212:213], v[0:1]
	ds_load_b128 v[0:3], v218
	s_wait_dscnt 0x0
	v_fma_f64 v[22:23], v[22:23], -0.5, v[0:1]
	v_add_f64_e32 v[0:1], v[0:1], v[4:5]
	v_fma_f64 v[225:226], v[36:37], -0.5, v[2:3]
	v_add_f64_e32 v[2:3], v[2:3], v[6:7]
	v_add_f64_e64 v[6:7], v[6:7], -v[10:11]
	s_delay_alu instid0(VALU_DEP_4) | instskip(SKIP_1) | instid1(VALU_DEP_4)
	v_add_f64_e32 v[36:37], v[0:1], v[8:9]
	v_add_f64_e64 v[0:1], v[4:5], -v[8:9]
	v_add_f64_e32 v[38:39], v[2:3], v[10:11]
	v_add_f64_e32 v[2:3], v[14:15], v[18:19]
	;; [unrolled: 1-line block ×3, first 2 shown]
	v_add_f64_e64 v[8:9], v[14:15], -v[18:19]
	v_fma_f64 v[40:41], v[6:7], s[2:3], v[22:23]
	v_fma_f64 v[223:224], v[6:7], s[12:13], v[22:23]
	v_add_f64_e32 v[6:7], v[235:236], v[12:13]
	v_add_f64_e64 v[22:23], v[24:25], -v[20:21]
	v_fma_f64 v[42:43], v[0:1], s[12:13], v[225:226]
	v_fma_f64 v[225:226], v[0:1], s[2:3], v[225:226]
	v_add_f64_e32 v[0:1], v[12:13], v[16:17]
	v_fma_f64 v[2:3], v[2:3], -0.5, v[237:238]
	v_add_f64_e32 v[237:238], v[4:5], v[18:19]
	v_add_f64_e64 v[4:5], v[12:13], -v[16:17]
	s_delay_alu instid0(VALU_DEP_4) | instskip(SKIP_2) | instid1(VALU_DEP_4)
	v_fma_f64 v[0:1], v[0:1], -0.5, v[235:236]
	v_add_f64_e32 v[235:236], v[6:7], v[16:17]
	v_add_f64_e32 v[6:7], v[247:248], v[28:29]
	v_fma_f64 v[241:242], v[4:5], s[12:13], v[2:3]
	v_fma_f64 v[245:246], v[4:5], s[2:3], v[2:3]
	v_add_f64_e32 v[2:3], v[30:31], v[34:35]
	v_add_f64_e32 v[4:5], v[249:250], v[30:31]
	v_fma_f64 v[239:240], v[8:9], s[2:3], v[0:1]
	v_fma_f64 v[243:244], v[8:9], s[12:13], v[0:1]
	v_add_f64_e32 v[0:1], v[28:29], v[32:33]
	v_add_f64_e64 v[8:9], v[30:31], -v[34:35]
	v_fma_f64 v[2:3], v[2:3], -0.5, v[249:250]
	v_add_f64_e32 v[249:250], v[4:5], v[34:35]
	v_add_f64_e64 v[4:5], v[28:29], -v[32:33]
	v_fma_f64 v[0:1], v[0:1], -0.5, v[247:248]
	v_add_f64_e32 v[247:248], v[6:7], v[32:33]
	s_delay_alu instid0(VALU_DEP_3)
	v_fma_f64 v[14:15], v[4:5], s[12:13], v[2:3]
	v_fma_f64 v[18:19], v[4:5], s[2:3], v[2:3]
	v_add_f64_e32 v[4:5], v[251:252], v[26:27]
	v_fma_f64 v[12:13], v[8:9], s[2:3], v[0:1]
	v_fma_f64 v[16:17], v[8:9], s[12:13], v[0:1]
	ds_load_b128 v[0:3], v218 offset:11664
	s_wait_dscnt 0x0
	v_fma_f64 v[8:9], v[4:5], -0.5, v[0:1]
	v_add_f64_e32 v[4:5], v[24:25], v[20:21]
	v_add_f64_e32 v[0:1], v[0:1], v[251:252]
	s_delay_alu instid0(VALU_DEP_2) | instskip(SKIP_1) | instid1(VALU_DEP_3)
	v_fma_f64 v[10:11], v[4:5], -0.5, v[2:3]
	v_add_f64_e32 v[2:3], v[2:3], v[24:25]
	v_add_f64_e32 v[0:1], v[0:1], v[26:27]
	v_fma_f64 v[4:5], v[22:23], s[2:3], v[8:9]
	v_fma_f64 v[8:9], v[22:23], s[12:13], v[8:9]
	s_delay_alu instid0(VALU_DEP_4) | instskip(SKIP_1) | instid1(VALU_DEP_1)
	v_add_f64_e32 v[2:3], v[2:3], v[20:21]
	v_add_f64_e64 v[20:21], v[251:252], -v[26:27]
	v_fma_f64 v[6:7], v[20:21], s[12:13], v[10:11]
	v_fma_f64 v[10:11], v[20:21], s[2:3], v[10:11]
	ds_store_b128 v218, v[235:238] offset:3888
	ds_store_b128 v218, v[247:250] offset:7776
	;; [unrolled: 1-line block ×3, first 2 shown]
	ds_store_b128 v218, v[36:39]
	ds_store_b128 v218, v[239:242] offset:19440
	ds_store_b128 v218, v[12:15] offset:23328
	;; [unrolled: 1-line block ×8, first 2 shown]
	global_wb scope:SCOPE_SE
	s_wait_dscnt 0x0
	s_barrier_signal -1
	s_barrier_wait -1
	global_inv scope:SCOPE_SE
	global_load_b128 v[0:3], v218, s[8:9] offset:46656
	ds_load_b128 v[4:7], v218
	ds_load_b128 v[235:238], v218 offset:38880
	s_add_nc_u64 s[8:9], s[8:9], 0xb640
	ds_load_b128 v[10:13], v218 offset:7776
	ds_load_b128 v[239:242], v218 offset:3888
	;; [unrolled: 1-line block ×7, first 2 shown]
	s_wait_loadcnt_dscnt 0x8
	v_mul_f64_e32 v[8:9], v[6:7], v[2:3]
	v_mul_f64_e32 v[2:3], v[4:5], v[2:3]
	s_delay_alu instid0(VALU_DEP_2) | instskip(NEXT) | instid1(VALU_DEP_2)
	v_fma_f64 v[32:33], v[4:5], v[0:1], -v[8:9]
	v_fma_f64 v[34:35], v[6:7], v[0:1], v[2:3]
	global_load_b128 v[6:9], v218, s[8:9] offset:7776
	s_wait_loadcnt_dscnt 0x6
	v_mul_f64_e32 v[2:3], v[10:11], v[8:9]
	v_mul_f64_e32 v[0:1], v[12:13], v[8:9]
	s_delay_alu instid0(VALU_DEP_2)
	v_fma_f64 v[30:31], v[12:13], v[6:7], v[2:3]
	global_load_b128 v[12:15], v218, s[8:9] offset:15552
	v_fma_f64 v[28:29], v[10:11], v[6:7], -v[0:1]
	s_wait_loadcnt_dscnt 0x4
	v_mul_f64_e32 v[0:1], v[18:19], v[14:15]
	v_mul_f64_e32 v[2:3], v[16:17], v[14:15]
	s_delay_alu instid0(VALU_DEP_2) | instskip(NEXT) | instid1(VALU_DEP_2)
	v_fma_f64 v[14:15], v[16:17], v[12:13], -v[0:1]
	v_fma_f64 v[16:17], v[18:19], v[12:13], v[2:3]
	global_load_b128 v[18:21], v218, s[8:9] offset:23328
	s_wait_loadcnt_dscnt 0x2
	v_mul_f64_e32 v[0:1], v[24:25], v[20:21]
	v_mul_f64_e32 v[2:3], v[22:23], v[20:21]
	s_delay_alu instid0(VALU_DEP_2) | instskip(NEXT) | instid1(VALU_DEP_2)
	v_fma_f64 v[20:21], v[22:23], v[18:19], -v[0:1]
	v_fma_f64 v[22:23], v[24:25], v[18:19], v[2:3]
	global_load_b128 v[24:27], v218, s[8:9] offset:31104
	;; [unrolled: 7-line block ×3, first 2 shown]
	s_wait_loadcnt 0x0
	v_mul_f64_e32 v[0:1], v[237:238], v[26:27]
	v_mul_f64_e32 v[2:3], v[235:236], v[26:27]
	s_delay_alu instid0(VALU_DEP_2) | instskip(NEXT) | instid1(VALU_DEP_2)
	v_fma_f64 v[235:236], v[235:236], v[24:25], -v[0:1]
	v_fma_f64 v[237:238], v[237:238], v[24:25], v[2:3]
	global_load_b128 v[24:27], v218, s[8:9] offset:3888
	s_wait_loadcnt 0x0
	v_mul_f64_e32 v[0:1], v[241:242], v[26:27]
	v_mul_f64_e32 v[2:3], v[239:240], v[26:27]
	s_delay_alu instid0(VALU_DEP_2) | instskip(NEXT) | instid1(VALU_DEP_2)
	v_fma_f64 v[239:240], v[239:240], v[24:25], -v[0:1]
	v_fma_f64 v[241:242], v[241:242], v[24:25], v[2:3]
	global_load_b128 v[24:27], v218, s[8:9] offset:11664
	;; [unrolled: 7-line block ×4, first 2 shown]
	ds_load_b128 v[0:3], v218 offset:27216
	s_wait_loadcnt_dscnt 0x0
	v_mul_f64_e32 v[4:5], v[2:3], v[26:27]
	v_mul_f64_e32 v[6:7], v[0:1], v[26:27]
	s_delay_alu instid0(VALU_DEP_2) | instskip(NEXT) | instid1(VALU_DEP_2)
	v_fma_f64 v[8:9], v[0:1], v[24:25], -v[4:5]
	v_fma_f64 v[10:11], v[2:3], v[24:25], v[6:7]
	global_load_b128 v[4:7], v218, s[8:9] offset:34992
	ds_load_b128 v[24:27], v218 offset:34992
	s_wait_loadcnt_dscnt 0x0
	v_mul_f64_e32 v[0:1], v[26:27], v[6:7]
	v_mul_f64_e32 v[2:3], v[24:25], v[6:7]
	s_delay_alu instid0(VALU_DEP_2) | instskip(NEXT) | instid1(VALU_DEP_2)
	v_fma_f64 v[24:25], v[24:25], v[4:5], -v[0:1]
	v_fma_f64 v[26:27], v[26:27], v[4:5], v[2:3]
	global_load_b128 v[4:7], v218, s[8:9] offset:42768
	ds_load_b128 v[0:3], v218 offset:42768
	s_wait_loadcnt_dscnt 0x0
	v_mul_f64_e32 v[12:13], v[2:3], v[6:7]
	v_mul_f64_e32 v[6:7], v[0:1], v[6:7]
	s_delay_alu instid0(VALU_DEP_2) | instskip(NEXT) | instid1(VALU_DEP_2)
	v_fma_f64 v[0:1], v[0:1], v[4:5], -v[12:13]
	v_fma_f64 v[2:3], v[2:3], v[4:5], v[6:7]
	ds_store_b128 v218, v[28:31] offset:7776
	ds_store_b128 v218, v[239:242] offset:3888
	;; [unrolled: 1-line block ×10, first 2 shown]
	ds_store_b128 v218, v[32:35]
	ds_store_b128 v218, v[0:3] offset:42768
	global_wb scope:SCOPE_SE
	s_wait_dscnt 0x0
	s_barrier_signal -1
	s_barrier_wait -1
	global_inv scope:SCOPE_SE
	ds_load_b128 v[0:3], v218
	ds_load_b128 v[4:7], v218 offset:15552
	ds_load_b128 v[8:11], v218 offset:31104
	s_wait_dscnt 0x1
	v_add_f64_e32 v[12:13], v[0:1], v[4:5]
	v_add_f64_e32 v[14:15], v[2:3], v[6:7]
	s_wait_dscnt 0x0
	v_add_f64_e32 v[16:17], v[4:5], v[8:9]
	v_add_f64_e64 v[18:19], v[6:7], -v[10:11]
	v_add_f64_e32 v[20:21], v[6:7], v[10:11]
	v_add_f64_e64 v[22:23], v[4:5], -v[8:9]
	v_add_f64_e32 v[24:25], v[12:13], v[8:9]
	v_add_f64_e32 v[26:27], v[14:15], v[10:11]
	ds_load_b128 v[4:7], v218 offset:23328
	ds_load_b128 v[8:11], v218 offset:7776
	ds_load_b128 v[12:15], v218 offset:38880
	v_fma_f64 v[16:17], v[16:17], -0.5, v[0:1]
	v_fma_f64 v[20:21], v[20:21], -0.5, v[2:3]
	s_wait_dscnt 0x1
	v_add_f64_e32 v[28:29], v[8:9], v[4:5]
	s_wait_dscnt 0x0
	v_add_f64_e32 v[32:33], v[6:7], v[14:15]
	v_add_f64_e32 v[30:31], v[10:11], v[6:7]
	;; [unrolled: 1-line block ×3, first 2 shown]
	v_add_f64_e64 v[38:39], v[4:5], -v[12:13]
	v_add_f64_e64 v[36:37], v[6:7], -v[14:15]
	v_add_f64_e32 v[4:5], v[28:29], v[12:13]
	v_fma_f64 v[28:29], v[32:33], -0.5, v[10:11]
	v_add_f64_e32 v[6:7], v[30:31], v[14:15]
	v_fma_f64 v[30:31], v[34:35], -0.5, v[8:9]
	s_delay_alu instid0(VALU_DEP_4) | instskip(NEXT) | instid1(VALU_DEP_4)
	v_add_f64_e32 v[0:1], v[24:25], v[4:5]
	v_fma_f64 v[8:9], v[38:39], s[2:3], v[28:29]
	s_delay_alu instid0(VALU_DEP_4) | instskip(NEXT) | instid1(VALU_DEP_4)
	v_add_f64_e32 v[2:3], v[26:27], v[6:7]
	v_fma_f64 v[12:13], v[36:37], s[12:13], v[30:31]
	v_add_f64_e64 v[4:5], v[24:25], -v[4:5]
	v_add_f64_e64 v[6:7], v[26:27], -v[6:7]
	v_fma_f64 v[26:27], v[22:23], s[2:3], v[20:21]
	v_fma_f64 v[22:23], v[22:23], s[12:13], v[20:21]
	v_mul_f64_e32 v[10:11], s[12:13], v[8:9]
	v_mul_f64_e32 v[8:9], 0.5, v[8:9]
	s_delay_alu instid0(VALU_DEP_2) | instskip(NEXT) | instid1(VALU_DEP_2)
	v_fma_f64 v[14:15], v[12:13], 0.5, v[10:11]
	v_fma_f64 v[24:25], v[12:13], s[2:3], v[8:9]
	v_fma_f64 v[12:13], v[18:19], s[12:13], v[16:17]
	s_delay_alu instid0(VALU_DEP_2) | instskip(NEXT) | instid1(VALU_DEP_2)
	v_add_f64_e32 v[10:11], v[26:27], v[24:25]
	v_add_f64_e32 v[8:9], v[12:13], v[14:15]
	v_add_f64_e64 v[12:13], v[12:13], -v[14:15]
	v_add_f64_e64 v[14:15], v[26:27], -v[24:25]
	v_fma_f64 v[24:25], v[38:39], s[12:13], v[28:29]
	v_fma_f64 v[26:27], v[18:19], s[2:3], v[16:17]
	;; [unrolled: 1-line block ×3, first 2 shown]
	s_delay_alu instid0(VALU_DEP_3) | instskip(SKIP_1) | instid1(VALU_DEP_2)
	v_mul_f64_e32 v[18:19], s[12:13], v[24:25]
	v_mul_f64_e32 v[20:21], -0.5, v[24:25]
	v_fma_f64 v[24:25], v[16:17], -0.5, v[18:19]
	s_delay_alu instid0(VALU_DEP_2) | instskip(NEXT) | instid1(VALU_DEP_2)
	v_fma_f64 v[28:29], v[16:17], s[2:3], v[20:21]
	v_add_f64_e32 v[16:17], v[26:27], v[24:25]
	s_delay_alu instid0(VALU_DEP_2)
	v_add_f64_e32 v[18:19], v[22:23], v[28:29]
	v_add_f64_e64 v[20:21], v[26:27], -v[24:25]
	v_add_f64_e64 v[22:23], v[22:23], -v[28:29]
	ds_load_b128 v[24:27], v218 offset:3888
	ds_load_b128 v[28:31], v218 offset:19440
	ds_load_b128 v[32:35], v218 offset:11664
	ds_load_b128 v[223:226], v218 offset:42768
	ds_load_b128 v[235:238], v218 offset:27216
	ds_load_b128 v[239:242], v218 offset:34992
	global_wb scope:SCOPE_SE
	s_wait_dscnt 0x0
	s_barrier_signal -1
	s_barrier_wait -1
	global_inv scope:SCOPE_SE
	ds_store_b128 v220, v[0:3]
	ds_store_b128 v220, v[4:7] offset:48
	ds_store_b128 v220, v[8:11] offset:16
	;; [unrolled: 1-line block ×5, first 2 shown]
	v_add_f64_e32 v[0:1], v[24:25], v[28:29]
	v_add_f64_e32 v[2:3], v[26:27], v[30:31]
	;; [unrolled: 1-line block ×4, first 2 shown]
	v_add_f64_e64 v[18:19], v[28:29], -v[239:240]
	v_add_f64_e32 v[14:15], v[235:236], v[223:224]
	v_add_f64_e64 v[22:23], v[235:236], -v[223:224]
	v_add_f64_e64 v[16:17], v[30:31], -v[241:242]
	v_add_f64_e32 v[6:7], v[30:31], v[241:242]
	v_add_f64_e64 v[20:21], v[237:238], -v[225:226]
	v_add_f64_e32 v[8:9], v[0:1], v[239:240]
	v_add_f64_e32 v[0:1], v[32:33], v[235:236]
	;; [unrolled: 1-line block ×4, first 2 shown]
	v_fma_f64 v[34:35], v[12:13], -0.5, v[34:35]
	v_fma_f64 v[24:25], v[4:5], -0.5, v[24:25]
	;; [unrolled: 1-line block ×4, first 2 shown]
	v_add_f64_e32 v[28:29], v[0:1], v[223:224]
	v_add_f64_e32 v[30:31], v[2:3], v[225:226]
	s_delay_alu instid0(VALU_DEP_4) | instskip(NEXT) | instid1(VALU_DEP_3)
	v_fma_f64 v[12:13], v[20:21], s[12:13], v[32:33]
	v_add_f64_e32 v[0:1], v[8:9], v[28:29]
	v_add_f64_e64 v[4:5], v[8:9], -v[28:29]
	v_fma_f64 v[8:9], v[22:23], s[2:3], v[34:35]
	v_add_f64_e32 v[2:3], v[10:11], v[30:31]
	v_add_f64_e64 v[6:7], v[10:11], -v[30:31]
	v_fma_f64 v[22:23], v[22:23], s[12:13], v[34:35]
	v_fma_f64 v[30:31], v[18:19], s[2:3], v[26:27]
	;; [unrolled: 1-line block ×3, first 2 shown]
	v_mul_f64_e32 v[10:11], s[12:13], v[8:9]
	v_mul_f64_e32 v[8:9], 0.5, v[8:9]
	v_mul_f64_e32 v[18:19], s[12:13], v[22:23]
	s_delay_alu instid0(VALU_DEP_3) | instskip(NEXT) | instid1(VALU_DEP_3)
	v_fma_f64 v[14:15], v[12:13], 0.5, v[10:11]
	v_fma_f64 v[28:29], v[12:13], s[2:3], v[8:9]
	v_fma_f64 v[12:13], v[16:17], s[12:13], v[24:25]
	;; [unrolled: 1-line block ×4, first 2 shown]
	v_mul_f64_e32 v[20:21], -0.5, v[22:23]
	v_add_f64_e32 v[10:11], v[30:31], v[28:29]
	v_add_f64_e32 v[8:9], v[12:13], v[14:15]
	v_add_f64_e64 v[12:13], v[12:13], -v[14:15]
	v_add_f64_e64 v[14:15], v[30:31], -v[28:29]
	v_fma_f64 v[22:23], v[16:17], -0.5, v[18:19]
	v_fma_f64 v[28:29], v[16:17], s[2:3], v[20:21]
	s_delay_alu instid0(VALU_DEP_2) | instskip(NEXT) | instid1(VALU_DEP_2)
	v_add_f64_e32 v[16:17], v[24:25], v[22:23]
	v_add_f64_e32 v[18:19], v[26:27], v[28:29]
	v_add_f64_e64 v[20:21], v[24:25], -v[22:23]
	v_add_f64_e64 v[22:23], v[26:27], -v[28:29]
	ds_store_b128 v219, v[0:3]
	ds_store_b128 v219, v[8:11] offset:16
	ds_store_b128 v219, v[16:19] offset:32
	;; [unrolled: 1-line block ×5, first 2 shown]
	global_wb scope:SCOPE_SE
	s_wait_dscnt 0x0
	s_barrier_signal -1
	s_barrier_wait -1
	global_inv scope:SCOPE_SE
	ds_load_b128 v[0:3], v218 offset:7776
	s_wait_dscnt 0x0
	v_mul_f64_e32 v[4:5], v[70:71], v[2:3]
	s_delay_alu instid0(VALU_DEP_1) | instskip(SKIP_1) | instid1(VALU_DEP_1)
	v_fma_f64 v[8:9], v[68:69], v[0:1], v[4:5]
	v_mul_f64_e32 v[0:1], v[70:71], v[0:1]
	v_fma_f64 v[10:11], v[68:69], v[2:3], -v[0:1]
	ds_load_b128 v[0:3], v218 offset:15552
	s_wait_dscnt 0x0
	v_mul_f64_e32 v[4:5], v[74:75], v[2:3]
	s_delay_alu instid0(VALU_DEP_1) | instskip(SKIP_1) | instid1(VALU_DEP_1)
	v_fma_f64 v[12:13], v[72:73], v[0:1], v[4:5]
	v_mul_f64_e32 v[0:1], v[74:75], v[0:1]
	v_fma_f64 v[14:15], v[72:73], v[2:3], -v[0:1]
	;; [unrolled: 7-line block ×9, first 2 shown]
	ds_load_b128 v[0:3], v218 offset:42768
	s_wait_dscnt 0x0
	v_mul_f64_e32 v[4:5], v[54:55], v[2:3]
	s_delay_alu instid0(VALU_DEP_1) | instskip(SKIP_2) | instid1(VALU_DEP_2)
	v_fma_f64 v[48:49], v[52:53], v[0:1], v[4:5]
	v_mul_f64_e32 v[0:1], v[54:55], v[0:1]
	v_add_f64_e32 v[4:5], v[12:13], v[20:21]
	v_fma_f64 v[50:51], v[52:53], v[2:3], -v[0:1]
	ds_load_b128 v[0:3], v218
	s_wait_dscnt 0x0
	v_fma_f64 v[52:53], v[4:5], -0.5, v[0:1]
	v_add_f64_e32 v[4:5], v[14:15], v[22:23]
	v_add_f64_e32 v[0:1], v[0:1], v[12:13]
	s_delay_alu instid0(VALU_DEP_2) | instskip(NEXT) | instid1(VALU_DEP_2)
	v_fma_f64 v[54:55], v[4:5], -0.5, v[2:3]
	v_add_f64_e32 v[4:5], v[0:1], v[20:21]
	v_add_f64_e32 v[0:1], v[8:9], v[16:17]
	;; [unrolled: 1-line block ×3, first 2 shown]
	v_add_f64_e64 v[20:21], v[12:13], -v[20:21]
	s_delay_alu instid0(VALU_DEP_3) | instskip(SKIP_1) | instid1(VALU_DEP_4)
	v_add_f64_e32 v[56:57], v[0:1], v[24:25]
	v_add_f64_e32 v[0:1], v[10:11], v[18:19]
	;; [unrolled: 1-line block ×3, first 2 shown]
	v_add_f64_e64 v[22:23], v[14:15], -v[22:23]
	s_delay_alu instid0(VALU_DEP_3)
	v_add_f64_e32 v[58:59], v[0:1], v[26:27]
	v_add_f64_e32 v[0:1], v[4:5], v[56:57]
	v_add_f64_e64 v[4:5], v[4:5], -v[56:57]
	v_add_f64_e32 v[56:57], v[16:17], v[24:25]
	v_add_f64_e64 v[16:17], v[16:17], -v[24:25]
	;; [unrolled: 2-line block ×4, first 2 shown]
	v_fma_f64 v[58:59], v[20:21], s[2:3], v[54:55]
	v_fma_f64 v[26:27], v[56:57], -0.5, v[8:9]
	v_fma_f64 v[24:25], v[24:25], -0.5, v[10:11]
	s_delay_alu instid0(VALU_DEP_2) | instskip(SKIP_1) | instid1(VALU_DEP_3)
	v_fma_f64 v[12:13], v[18:19], s[12:13], v[26:27]
	v_fma_f64 v[18:19], v[18:19], s[2:3], v[26:27]
	;; [unrolled: 1-line block ×5, first 2 shown]
	s_delay_alu instid0(VALU_DEP_3) | instskip(SKIP_1) | instid1(VALU_DEP_4)
	v_mul_f64_e32 v[10:11], s[12:13], v[8:9]
	v_mul_f64_e32 v[8:9], 0.5, v[8:9]
	v_mul_f64_e32 v[20:21], s[12:13], v[16:17]
	v_mul_f64_e32 v[16:17], -0.5, v[16:17]
	s_delay_alu instid0(VALU_DEP_4) | instskip(NEXT) | instid1(VALU_DEP_4)
	v_fma_f64 v[14:15], v[12:13], 0.5, v[10:11]
	v_fma_f64 v[56:57], v[12:13], s[2:3], v[8:9]
	v_fma_f64 v[12:13], v[22:23], s[12:13], v[52:53]
	;; [unrolled: 1-line block ×3, first 2 shown]
	v_fma_f64 v[20:21], v[18:19], -0.5, v[20:21]
	v_fma_f64 v[26:27], v[18:19], s[2:3], v[16:17]
	v_add_f64_e32 v[10:11], v[58:59], v[56:57]
	v_add_f64_e32 v[8:9], v[12:13], v[14:15]
	v_add_f64_e64 v[12:13], v[12:13], -v[14:15]
	v_add_f64_e32 v[16:17], v[22:23], v[20:21]
	v_add_f64_e32 v[18:19], v[24:25], v[26:27]
	v_add_f64_e64 v[14:15], v[58:59], -v[56:57]
	v_add_f64_e64 v[20:21], v[22:23], -v[20:21]
	;; [unrolled: 1-line block ×3, first 2 shown]
	ds_load_b128 v[24:27], v218 offset:3888
	global_wb scope:SCOPE_SE
	s_wait_dscnt 0x0
	s_barrier_signal -1
	s_barrier_wait -1
	global_inv scope:SCOPE_SE
	ds_store_b128 v222, v[0:3]
	ds_store_b128 v222, v[4:7] offset:288
	ds_store_b128 v222, v[8:11] offset:96
	;; [unrolled: 1-line block ×5, first 2 shown]
	v_add_f64_e32 v[0:1], v[32:33], v[40:41]
	v_add_f64_e32 v[2:3], v[26:27], v[34:35]
	v_add_f64_e64 v[20:21], v[36:37], -v[48:49]
	s_delay_alu instid0(VALU_DEP_3) | instskip(SKIP_1) | instid1(VALU_DEP_4)
	v_fma_f64 v[16:17], v[0:1], -0.5, v[24:25]
	v_add_f64_e32 v[0:1], v[34:35], v[42:43]
	v_add_f64_e32 v[6:7], v[2:3], v[42:43]
	s_delay_alu instid0(VALU_DEP_2) | instskip(SKIP_3) | instid1(VALU_DEP_3)
	v_fma_f64 v[18:19], v[0:1], -0.5, v[26:27]
	v_add_f64_e32 v[0:1], v[24:25], v[32:33]
	v_add_f64_e64 v[26:27], v[38:39], -v[50:51]
	v_add_f64_e64 v[24:25], v[32:33], -v[40:41]
	v_add_f64_e32 v[4:5], v[0:1], v[40:41]
	v_add_f64_e32 v[0:1], v[28:29], v[36:37]
	s_delay_alu instid0(VALU_DEP_1) | instskip(SKIP_1) | instid1(VALU_DEP_1)
	v_add_f64_e32 v[8:9], v[0:1], v[48:49]
	v_add_f64_e32 v[0:1], v[30:31], v[38:39]
	;; [unrolled: 1-line block ×3, first 2 shown]
	s_delay_alu instid0(VALU_DEP_3) | instskip(SKIP_2) | instid1(VALU_DEP_4)
	v_add_f64_e32 v[0:1], v[4:5], v[8:9]
	v_add_f64_e64 v[4:5], v[4:5], -v[8:9]
	v_add_f64_e32 v[8:9], v[36:37], v[48:49]
	v_add_f64_e32 v[2:3], v[6:7], v[10:11]
	v_add_f64_e64 v[6:7], v[6:7], -v[10:11]
	v_add_f64_e32 v[10:11], v[38:39], v[50:51]
	s_delay_alu instid0(VALU_DEP_4) | instskip(NEXT) | instid1(VALU_DEP_2)
	v_fma_f64 v[28:29], v[8:9], -0.5, v[28:29]
	v_fma_f64 v[22:23], v[10:11], -0.5, v[30:31]
	v_add_f64_e64 v[30:31], v[34:35], -v[42:43]
	s_delay_alu instid0(VALU_DEP_3)
	v_fma_f64 v[12:13], v[26:27], s[12:13], v[28:29]
	v_fma_f64 v[34:35], v[24:25], s[2:3], v[18:19]
	;; [unrolled: 1-line block ×7, first 2 shown]
	s_delay_alu instid0(VALU_DEP_4) | instskip(SKIP_2) | instid1(VALU_DEP_3)
	v_mul_f64_e32 v[10:11], s[12:13], v[8:9]
	v_mul_f64_e32 v[8:9], 0.5, v[8:9]
	v_mul_f64_e32 v[18:19], -0.5, v[20:21]
	v_fma_f64 v[14:15], v[12:13], 0.5, v[10:11]
	s_delay_alu instid0(VALU_DEP_3) | instskip(SKIP_2) | instid1(VALU_DEP_3)
	v_fma_f64 v[32:33], v[12:13], s[2:3], v[8:9]
	v_fma_f64 v[12:13], v[30:31], s[12:13], v[16:17]
	v_mul_f64_e32 v[16:17], s[12:13], v[20:21]
	v_add_f64_e32 v[10:11], v[34:35], v[32:33]
	s_delay_alu instid0(VALU_DEP_3) | instskip(NEXT) | instid1(VALU_DEP_3)
	v_add_f64_e32 v[8:9], v[12:13], v[14:15]
	v_fma_f64 v[20:21], v[22:23], -0.5, v[16:17]
	v_fma_f64 v[22:23], v[22:23], s[2:3], v[18:19]
	v_add_f64_e64 v[12:13], v[12:13], -v[14:15]
	v_add_f64_e64 v[14:15], v[34:35], -v[32:33]
	s_delay_alu instid0(VALU_DEP_4) | instskip(NEXT) | instid1(VALU_DEP_4)
	v_add_f64_e32 v[16:17], v[26:27], v[20:21]
	v_add_f64_e32 v[18:19], v[24:25], v[22:23]
	v_add_f64_e64 v[20:21], v[26:27], -v[20:21]
	v_add_f64_e64 v[22:23], v[24:25], -v[22:23]
	ds_store_b128 v221, v[0:3]
	ds_store_b128 v221, v[8:11] offset:96
	ds_store_b128 v221, v[16:19] offset:192
	ds_store_b128 v221, v[4:7] offset:288
	ds_store_b128 v221, v[12:15] offset:384
	ds_store_b128 v221, v[20:23] offset:480
	global_wb scope:SCOPE_SE
	s_wait_dscnt 0x0
	s_barrier_signal -1
	s_barrier_wait -1
	global_inv scope:SCOPE_SE
	ds_load_b128 v[0:3], v218 offset:15552
	s_wait_dscnt 0x0
	v_mul_f64_e32 v[4:5], v[90:91], v[2:3]
	s_delay_alu instid0(VALU_DEP_1) | instskip(SKIP_1) | instid1(VALU_DEP_1)
	v_fma_f64 v[4:5], v[88:89], v[0:1], v[4:5]
	v_mul_f64_e32 v[0:1], v[90:91], v[0:1]
	v_fma_f64 v[6:7], v[88:89], v[2:3], -v[0:1]
	ds_load_b128 v[0:3], v218 offset:31104
	s_wait_dscnt 0x0
	v_mul_f64_e32 v[8:9], v[94:95], v[2:3]
	s_delay_alu instid0(VALU_DEP_1) | instskip(SKIP_1) | instid1(VALU_DEP_1)
	v_fma_f64 v[8:9], v[92:93], v[0:1], v[8:9]
	v_mul_f64_e32 v[0:1], v[94:95], v[0:1]
	v_fma_f64 v[10:11], v[92:93], v[2:3], -v[0:1]
	ds_load_b128 v[0:3], v218 offset:19440
	s_wait_dscnt 0x0
	v_mul_f64_e32 v[12:13], v[98:99], v[2:3]
	v_add_f64_e32 v[14:15], v[6:7], v[10:11]
	s_delay_alu instid0(VALU_DEP_2) | instskip(SKIP_1) | instid1(VALU_DEP_1)
	v_fma_f64 v[24:25], v[96:97], v[0:1], v[12:13]
	v_mul_f64_e32 v[0:1], v[98:99], v[0:1]
	v_fma_f64 v[26:27], v[96:97], v[2:3], -v[0:1]
	ds_load_b128 v[0:3], v218 offset:34992
	s_wait_dscnt 0x0
	v_mul_f64_e32 v[12:13], v[102:103], v[2:3]
	s_delay_alu instid0(VALU_DEP_1) | instskip(SKIP_1) | instid1(VALU_DEP_1)
	v_fma_f64 v[28:29], v[100:101], v[0:1], v[12:13]
	v_mul_f64_e32 v[0:1], v[102:103], v[0:1]
	v_fma_f64 v[30:31], v[100:101], v[2:3], -v[0:1]
	ds_load_b128 v[0:3], v218 offset:23328
	s_wait_dscnt 0x0
	v_mul_f64_e32 v[12:13], v[106:107], v[2:3]
	s_delay_alu instid0(VALU_DEP_1) | instskip(SKIP_1) | instid1(VALU_DEP_1)
	;; [unrolled: 7-line block ×4, first 2 shown]
	v_fma_f64 v[40:41], v[112:113], v[0:1], v[12:13]
	v_mul_f64_e32 v[0:1], v[114:115], v[0:1]
	v_fma_f64 v[42:43], v[112:113], v[2:3], -v[0:1]
	ds_load_b128 v[0:3], v218 offset:42768
	s_wait_dscnt 0x0
	v_mul_f64_e32 v[12:13], v[118:119], v[2:3]
	s_delay_alu instid0(VALU_DEP_1) | instskip(SKIP_2) | instid1(VALU_DEP_2)
	v_fma_f64 v[48:49], v[116:117], v[0:1], v[12:13]
	v_mul_f64_e32 v[0:1], v[118:119], v[0:1]
	v_add_f64_e32 v[12:13], v[4:5], v[8:9]
	v_fma_f64 v[50:51], v[116:117], v[2:3], -v[0:1]
	ds_load_b128 v[0:3], v218
	s_wait_dscnt 0x0
	v_fma_f64 v[14:15], v[14:15], -0.5, v[2:3]
	v_add_f64_e32 v[2:3], v[2:3], v[6:7]
	v_fma_f64 v[12:13], v[12:13], -0.5, v[0:1]
	v_add_f64_e32 v[0:1], v[0:1], v[4:5]
	v_add_f64_e64 v[6:7], v[6:7], -v[10:11]
	s_delay_alu instid0(VALU_DEP_4) | instskip(SKIP_1) | instid1(VALU_DEP_4)
	v_add_f64_e32 v[2:3], v[2:3], v[10:11]
	v_add_f64_e64 v[10:11], v[4:5], -v[8:9]
	v_add_f64_e32 v[0:1], v[0:1], v[8:9]
	s_delay_alu instid0(VALU_DEP_4) | instskip(SKIP_1) | instid1(VALU_DEP_4)
	v_fma_f64 v[4:5], v[6:7], s[12:13], v[12:13]
	v_fma_f64 v[8:9], v[6:7], s[2:3], v[12:13]
	;; [unrolled: 1-line block ×4, first 2 shown]
	ds_load_b128 v[12:15], v218 offset:11664
	ds_load_b128 v[16:19], v218 offset:3888
	;; [unrolled: 1-line block ×3, first 2 shown]
	global_wb scope:SCOPE_SE
	s_wait_dscnt 0x0
	s_barrier_signal -1
	s_barrier_wait -1
	global_inv scope:SCOPE_SE
	scratch_load_b32 v52, off, off offset:180 th:TH_LOAD_LU ; 4-byte Folded Reload
	s_wait_loadcnt 0x0
	ds_store_b128 v52, v[0:3]
	ds_store_b128 v52, v[4:7] offset:576
	ds_store_b128 v52, v[8:11] offset:1152
	v_add_f64_e32 v[0:1], v[24:25], v[28:29]
	v_add_f64_e32 v[4:5], v[16:17], v[24:25]
	v_add_f64_e64 v[8:9], v[26:27], -v[30:31]
	s_delay_alu instid0(VALU_DEP_3) | instskip(SKIP_2) | instid1(VALU_DEP_2)
	v_fma_f64 v[6:7], v[0:1], -0.5, v[16:17]
	v_add_f64_e32 v[0:1], v[26:27], v[30:31]
	v_add_f64_e64 v[16:17], v[24:25], -v[28:29]
	v_fma_f64 v[10:11], v[0:1], -0.5, v[18:19]
	v_add_f64_e32 v[0:1], v[18:19], v[26:27]
	s_delay_alu instid0(VALU_DEP_1)
	v_add_f64_e32 v[2:3], v[0:1], v[30:31]
	v_add_f64_e32 v[0:1], v[4:5], v[28:29]
	v_fma_f64 v[4:5], v[8:9], s[12:13], v[6:7]
	v_fma_f64 v[8:9], v[8:9], s[2:3], v[6:7]
	;; [unrolled: 1-line block ×4, first 2 shown]
	scratch_load_b32 v16, off, off offset:176 th:TH_LOAD_LU ; 4-byte Folded Reload
	s_wait_loadcnt 0x0
	ds_store_b128 v16, v[0:3]
	ds_store_b128 v16, v[4:7] offset:576
	ds_store_b128 v16, v[8:11] offset:1152
	v_add_f64_e32 v[0:1], v[32:33], v[36:37]
	v_add_f64_e32 v[4:5], v[20:21], v[32:33]
	v_add_f64_e64 v[8:9], v[34:35], -v[38:39]
	v_add_f64_e64 v[16:17], v[32:33], -v[36:37]
	s_delay_alu instid0(VALU_DEP_4) | instskip(SKIP_1) | instid1(VALU_DEP_1)
	v_fma_f64 v[6:7], v[0:1], -0.5, v[20:21]
	v_add_f64_e32 v[0:1], v[34:35], v[38:39]
	v_fma_f64 v[10:11], v[0:1], -0.5, v[22:23]
	v_add_f64_e32 v[0:1], v[22:23], v[34:35]
	s_delay_alu instid0(VALU_DEP_1)
	v_add_f64_e32 v[2:3], v[0:1], v[38:39]
	v_add_f64_e32 v[0:1], v[4:5], v[36:37]
	v_fma_f64 v[4:5], v[8:9], s[12:13], v[6:7]
	v_fma_f64 v[8:9], v[8:9], s[2:3], v[6:7]
	;; [unrolled: 1-line block ×4, first 2 shown]
	ds_store_b128 v255, v[0:3]
	ds_store_b128 v255, v[4:7] offset:576
	ds_store_b128 v255, v[8:11] offset:1152
	v_add_f64_e32 v[0:1], v[40:41], v[48:49]
	v_add_f64_e32 v[4:5], v[12:13], v[40:41]
	v_add_f64_e64 v[8:9], v[42:43], -v[50:51]
	s_delay_alu instid0(VALU_DEP_3) | instskip(SKIP_2) | instid1(VALU_DEP_2)
	v_fma_f64 v[6:7], v[0:1], -0.5, v[12:13]
	v_add_f64_e32 v[0:1], v[42:43], v[50:51]
	v_add_f64_e64 v[12:13], v[40:41], -v[48:49]
	v_fma_f64 v[10:11], v[0:1], -0.5, v[14:15]
	v_add_f64_e32 v[0:1], v[14:15], v[42:43]
	s_delay_alu instid0(VALU_DEP_1)
	v_add_f64_e32 v[2:3], v[0:1], v[50:51]
	v_add_f64_e32 v[0:1], v[4:5], v[48:49]
	v_fma_f64 v[4:5], v[8:9], s[12:13], v[6:7]
	v_fma_f64 v[8:9], v[8:9], s[2:3], v[6:7]
	;; [unrolled: 1-line block ×4, first 2 shown]
	scratch_load_b32 v12, off, off offset:172 th:TH_LOAD_LU ; 4-byte Folded Reload
	s_wait_loadcnt 0x0
	ds_store_b128 v12, v[0:3]
	ds_store_b128 v12, v[4:7] offset:576
	ds_store_b128 v12, v[8:11] offset:1152
	global_wb scope:SCOPE_SE
	s_wait_dscnt 0x0
	s_barrier_signal -1
	s_barrier_wait -1
	global_inv scope:SCOPE_SE
	ds_load_b128 v[0:3], v218 offset:15552
	s_wait_dscnt 0x0
	v_mul_f64_e32 v[4:5], v[122:123], v[2:3]
	s_delay_alu instid0(VALU_DEP_1) | instskip(SKIP_1) | instid1(VALU_DEP_1)
	v_fma_f64 v[4:5], v[120:121], v[0:1], v[4:5]
	v_mul_f64_e32 v[0:1], v[122:123], v[0:1]
	v_fma_f64 v[6:7], v[120:121], v[2:3], -v[0:1]
	ds_load_b128 v[0:3], v218 offset:31104
	s_wait_dscnt 0x0
	v_mul_f64_e32 v[8:9], v[126:127], v[2:3]
	s_delay_alu instid0(VALU_DEP_1) | instskip(SKIP_1) | instid1(VALU_DEP_1)
	v_fma_f64 v[8:9], v[124:125], v[0:1], v[8:9]
	v_mul_f64_e32 v[0:1], v[126:127], v[0:1]
	v_fma_f64 v[10:11], v[124:125], v[2:3], -v[0:1]
	ds_load_b128 v[0:3], v218 offset:19440
	s_wait_dscnt 0x0
	v_mul_f64_e32 v[12:13], v[130:131], v[2:3]
	v_add_f64_e32 v[14:15], v[6:7], v[10:11]
	s_delay_alu instid0(VALU_DEP_2) | instskip(SKIP_1) | instid1(VALU_DEP_1)
	v_fma_f64 v[24:25], v[128:129], v[0:1], v[12:13]
	v_mul_f64_e32 v[0:1], v[130:131], v[0:1]
	v_fma_f64 v[26:27], v[128:129], v[2:3], -v[0:1]
	ds_load_b128 v[0:3], v218 offset:34992
	s_wait_dscnt 0x0
	v_mul_f64_e32 v[12:13], v[134:135], v[2:3]
	s_delay_alu instid0(VALU_DEP_1) | instskip(SKIP_1) | instid1(VALU_DEP_1)
	v_fma_f64 v[28:29], v[132:133], v[0:1], v[12:13]
	v_mul_f64_e32 v[0:1], v[134:135], v[0:1]
	v_fma_f64 v[30:31], v[132:133], v[2:3], -v[0:1]
	ds_load_b128 v[0:3], v218 offset:23328
	s_wait_dscnt 0x0
	v_mul_f64_e32 v[12:13], v[138:139], v[2:3]
	s_delay_alu instid0(VALU_DEP_1) | instskip(SKIP_1) | instid1(VALU_DEP_1)
	;; [unrolled: 7-line block ×4, first 2 shown]
	v_fma_f64 v[40:41], v[144:145], v[0:1], v[12:13]
	v_mul_f64_e32 v[0:1], v[146:147], v[0:1]
	v_fma_f64 v[42:43], v[144:145], v[2:3], -v[0:1]
	ds_load_b128 v[0:3], v218 offset:42768
	s_wait_dscnt 0x0
	v_mul_f64_e32 v[12:13], v[150:151], v[2:3]
	s_delay_alu instid0(VALU_DEP_1) | instskip(SKIP_2) | instid1(VALU_DEP_2)
	v_fma_f64 v[48:49], v[148:149], v[0:1], v[12:13]
	v_mul_f64_e32 v[0:1], v[150:151], v[0:1]
	v_add_f64_e32 v[12:13], v[4:5], v[8:9]
	v_fma_f64 v[50:51], v[148:149], v[2:3], -v[0:1]
	ds_load_b128 v[0:3], v218
	s_wait_dscnt 0x0
	v_fma_f64 v[14:15], v[14:15], -0.5, v[2:3]
	v_add_f64_e32 v[2:3], v[2:3], v[6:7]
	v_fma_f64 v[12:13], v[12:13], -0.5, v[0:1]
	v_add_f64_e32 v[0:1], v[0:1], v[4:5]
	v_add_f64_e64 v[6:7], v[6:7], -v[10:11]
	s_delay_alu instid0(VALU_DEP_4) | instskip(SKIP_1) | instid1(VALU_DEP_4)
	v_add_f64_e32 v[2:3], v[2:3], v[10:11]
	v_add_f64_e64 v[10:11], v[4:5], -v[8:9]
	v_add_f64_e32 v[0:1], v[0:1], v[8:9]
	s_delay_alu instid0(VALU_DEP_4) | instskip(SKIP_1) | instid1(VALU_DEP_4)
	v_fma_f64 v[4:5], v[6:7], s[12:13], v[12:13]
	v_fma_f64 v[8:9], v[6:7], s[2:3], v[12:13]
	;; [unrolled: 1-line block ×4, first 2 shown]
	ds_load_b128 v[12:15], v218 offset:11664
	ds_load_b128 v[16:19], v218 offset:3888
	;; [unrolled: 1-line block ×3, first 2 shown]
	global_wb scope:SCOPE_SE
	s_wait_dscnt 0x0
	s_barrier_signal -1
	s_barrier_wait -1
	global_inv scope:SCOPE_SE
	ds_store_b128 v233, v[0:3]
	ds_store_b128 v233, v[4:7] offset:1728
	ds_store_b128 v233, v[8:11] offset:3456
	v_add_f64_e32 v[0:1], v[24:25], v[28:29]
	v_add_f64_e32 v[4:5], v[16:17], v[24:25]
	v_add_f64_e64 v[8:9], v[26:27], -v[30:31]
	s_delay_alu instid0(VALU_DEP_3) | instskip(SKIP_2) | instid1(VALU_DEP_2)
	v_fma_f64 v[6:7], v[0:1], -0.5, v[16:17]
	v_add_f64_e32 v[0:1], v[26:27], v[30:31]
	v_add_f64_e64 v[16:17], v[24:25], -v[28:29]
	v_fma_f64 v[10:11], v[0:1], -0.5, v[18:19]
	v_add_f64_e32 v[0:1], v[18:19], v[26:27]
	s_delay_alu instid0(VALU_DEP_1)
	v_add_f64_e32 v[2:3], v[0:1], v[30:31]
	v_add_f64_e32 v[0:1], v[4:5], v[28:29]
	v_fma_f64 v[4:5], v[8:9], s[12:13], v[6:7]
	v_fma_f64 v[8:9], v[8:9], s[2:3], v[6:7]
	v_fma_f64 v[6:7], v[16:17], s[2:3], v[10:11]
	v_fma_f64 v[10:11], v[16:17], s[12:13], v[10:11]
	ds_store_b128 v231, v[0:3]
	ds_store_b128 v231, v[4:7] offset:1728
	ds_store_b128 v231, v[8:11] offset:3456
	v_add_f64_e32 v[0:1], v[32:33], v[36:37]
	v_add_f64_e32 v[4:5], v[20:21], v[32:33]
	v_add_f64_e64 v[8:9], v[34:35], -v[38:39]
	v_add_f64_e64 v[16:17], v[32:33], -v[36:37]
	s_delay_alu instid0(VALU_DEP_4) | instskip(SKIP_1) | instid1(VALU_DEP_1)
	v_fma_f64 v[6:7], v[0:1], -0.5, v[20:21]
	v_add_f64_e32 v[0:1], v[34:35], v[38:39]
	v_fma_f64 v[10:11], v[0:1], -0.5, v[22:23]
	v_add_f64_e32 v[0:1], v[22:23], v[34:35]
	s_delay_alu instid0(VALU_DEP_1)
	v_add_f64_e32 v[2:3], v[0:1], v[38:39]
	v_add_f64_e32 v[0:1], v[4:5], v[36:37]
	v_fma_f64 v[4:5], v[8:9], s[12:13], v[6:7]
	v_fma_f64 v[8:9], v[8:9], s[2:3], v[6:7]
	;; [unrolled: 1-line block ×4, first 2 shown]
	ds_store_b128 v254, v[0:3]
	ds_store_b128 v254, v[4:7] offset:1728
	ds_store_b128 v254, v[8:11] offset:3456
	v_add_f64_e32 v[0:1], v[40:41], v[48:49]
	v_add_f64_e32 v[4:5], v[12:13], v[40:41]
	v_add_f64_e64 v[8:9], v[42:43], -v[50:51]
	s_delay_alu instid0(VALU_DEP_3) | instskip(SKIP_2) | instid1(VALU_DEP_2)
	v_fma_f64 v[6:7], v[0:1], -0.5, v[12:13]
	v_add_f64_e32 v[0:1], v[42:43], v[50:51]
	v_add_f64_e64 v[12:13], v[40:41], -v[48:49]
	v_fma_f64 v[10:11], v[0:1], -0.5, v[14:15]
	v_add_f64_e32 v[0:1], v[14:15], v[42:43]
	s_delay_alu instid0(VALU_DEP_1)
	v_add_f64_e32 v[2:3], v[0:1], v[50:51]
	v_add_f64_e32 v[0:1], v[4:5], v[48:49]
	v_fma_f64 v[4:5], v[8:9], s[12:13], v[6:7]
	v_fma_f64 v[8:9], v[8:9], s[2:3], v[6:7]
	;; [unrolled: 1-line block ×4, first 2 shown]
	ds_store_b128 v217, v[0:3]
	ds_store_b128 v217, v[4:7] offset:1728
	ds_store_b128 v217, v[8:11] offset:3456
	global_wb scope:SCOPE_SE
	s_wait_dscnt 0x0
	s_barrier_signal -1
	s_barrier_wait -1
	global_inv scope:SCOPE_SE
	ds_load_b128 v[0:3], v218 offset:15552
	s_wait_dscnt 0x0
	v_mul_f64_e32 v[4:5], v[154:155], v[2:3]
	s_delay_alu instid0(VALU_DEP_1) | instskip(SKIP_1) | instid1(VALU_DEP_1)
	v_fma_f64 v[4:5], v[152:153], v[0:1], v[4:5]
	v_mul_f64_e32 v[0:1], v[154:155], v[0:1]
	v_fma_f64 v[6:7], v[152:153], v[2:3], -v[0:1]
	ds_load_b128 v[0:3], v218 offset:31104
	s_wait_dscnt 0x0
	v_mul_f64_e32 v[8:9], v[162:163], v[2:3]
	s_delay_alu instid0(VALU_DEP_1) | instskip(SKIP_1) | instid1(VALU_DEP_1)
	v_fma_f64 v[8:9], v[160:161], v[0:1], v[8:9]
	v_mul_f64_e32 v[0:1], v[162:163], v[0:1]
	v_fma_f64 v[10:11], v[160:161], v[2:3], -v[0:1]
	ds_load_b128 v[0:3], v218 offset:19440
	s_wait_dscnt 0x0
	v_mul_f64_e32 v[12:13], v[166:167], v[2:3]
	v_add_f64_e32 v[14:15], v[6:7], v[10:11]
	s_delay_alu instid0(VALU_DEP_2) | instskip(SKIP_1) | instid1(VALU_DEP_1)
	v_fma_f64 v[16:17], v[164:165], v[0:1], v[12:13]
	v_mul_f64_e32 v[0:1], v[166:167], v[0:1]
	v_fma_f64 v[18:19], v[164:165], v[2:3], -v[0:1]
	ds_load_b128 v[0:3], v218 offset:34992
	s_wait_dscnt 0x0
	v_mul_f64_e32 v[12:13], v[174:175], v[2:3]
	s_delay_alu instid0(VALU_DEP_1) | instskip(SKIP_1) | instid1(VALU_DEP_2)
	v_fma_f64 v[20:21], v[172:173], v[0:1], v[12:13]
	v_mul_f64_e32 v[0:1], v[174:175], v[0:1]
	v_add_f64_e32 v[24:25], v[16:17], v[20:21]
	s_delay_alu instid0(VALU_DEP_2) | instskip(SKIP_4) | instid1(VALU_DEP_2)
	v_fma_f64 v[22:23], v[172:173], v[2:3], -v[0:1]
	ds_load_b128 v[0:3], v218 offset:23328
	s_wait_dscnt 0x0
	v_mul_f64_e32 v[12:13], v[178:179], v[2:3]
	v_add_f64_e32 v[26:27], v[18:19], v[22:23]
	v_fma_f64 v[32:33], v[176:177], v[0:1], v[12:13]
	v_mul_f64_e32 v[0:1], v[178:179], v[0:1]
	s_delay_alu instid0(VALU_DEP_1) | instskip(SKIP_3) | instid1(VALU_DEP_1)
	v_fma_f64 v[34:35], v[176:177], v[2:3], -v[0:1]
	ds_load_b128 v[0:3], v218 offset:38880
	s_wait_dscnt 0x0
	v_mul_f64_e32 v[12:13], v[182:183], v[2:3]
	v_fma_f64 v[36:37], v[180:181], v[0:1], v[12:13]
	v_mul_f64_e32 v[0:1], v[182:183], v[0:1]
	s_delay_alu instid0(VALU_DEP_1) | instskip(SKIP_3) | instid1(VALU_DEP_1)
	v_fma_f64 v[38:39], v[180:181], v[2:3], -v[0:1]
	ds_load_b128 v[0:3], v218 offset:27216
	s_wait_dscnt 0x0
	v_mul_f64_e32 v[12:13], v[186:187], v[2:3]
	;; [unrolled: 7-line block ×3, first 2 shown]
	v_fma_f64 v[48:49], v[188:189], v[0:1], v[12:13]
	v_mul_f64_e32 v[0:1], v[190:191], v[0:1]
	v_add_f64_e32 v[12:13], v[4:5], v[8:9]
	s_delay_alu instid0(VALU_DEP_2)
	v_fma_f64 v[50:51], v[188:189], v[2:3], -v[0:1]
	ds_load_b128 v[0:3], v218
	s_wait_dscnt 0x0
	v_fma_f64 v[14:15], v[14:15], -0.5, v[2:3]
	v_add_f64_e32 v[2:3], v[2:3], v[6:7]
	v_fma_f64 v[12:13], v[12:13], -0.5, v[0:1]
	v_add_f64_e32 v[0:1], v[0:1], v[4:5]
	v_add_f64_e64 v[6:7], v[6:7], -v[10:11]
	s_delay_alu instid0(VALU_DEP_4) | instskip(SKIP_1) | instid1(VALU_DEP_4)
	v_add_f64_e32 v[2:3], v[2:3], v[10:11]
	v_add_f64_e64 v[10:11], v[4:5], -v[8:9]
	v_add_f64_e32 v[0:1], v[0:1], v[8:9]
	s_delay_alu instid0(VALU_DEP_4) | instskip(SKIP_1) | instid1(VALU_DEP_4)
	v_fma_f64 v[4:5], v[6:7], s[12:13], v[12:13]
	v_fma_f64 v[8:9], v[6:7], s[2:3], v[12:13]
	;; [unrolled: 1-line block ×4, first 2 shown]
	ds_load_b128 v[12:15], v218 offset:3888
	s_wait_dscnt 0x0
	v_fma_f64 v[26:27], v[26:27], -0.5, v[14:15]
	v_add_f64_e32 v[14:15], v[14:15], v[18:19]
	v_fma_f64 v[24:25], v[24:25], -0.5, v[12:13]
	v_add_f64_e32 v[12:13], v[12:13], v[16:17]
	v_add_f64_e64 v[18:19], v[18:19], -v[22:23]
	s_delay_alu instid0(VALU_DEP_4) | instskip(SKIP_1) | instid1(VALU_DEP_4)
	v_add_f64_e32 v[14:15], v[14:15], v[22:23]
	v_add_f64_e64 v[22:23], v[16:17], -v[20:21]
	v_add_f64_e32 v[12:13], v[12:13], v[20:21]
	s_delay_alu instid0(VALU_DEP_4) | instskip(SKIP_1) | instid1(VALU_DEP_4)
	v_fma_f64 v[16:17], v[18:19], s[12:13], v[24:25]
	v_fma_f64 v[20:21], v[18:19], s[2:3], v[24:25]
	v_fma_f64 v[18:19], v[22:23], s[2:3], v[26:27]
	v_fma_f64 v[22:23], v[22:23], s[12:13], v[26:27]
	ds_load_b128 v[24:27], v218 offset:11664
	ds_load_b128 v[28:31], v218 offset:7776
	global_wb scope:SCOPE_SE
	s_wait_dscnt 0x0
	s_barrier_signal -1
	s_barrier_wait -1
	global_inv scope:SCOPE_SE
	ds_store_b128 v218, v[0:3]
	ds_store_b128 v218, v[4:7] offset:5184
	ds_store_b128 v218, v[8:11] offset:10368
	ds_store_b128 v232, v[12:15]
	ds_store_b128 v232, v[16:19] offset:5184
	ds_store_b128 v232, v[20:23] offset:10368
	v_add_f64_e32 v[0:1], v[32:33], v[36:37]
	v_add_f64_e32 v[4:5], v[28:29], v[32:33]
	v_add_f64_e64 v[8:9], v[34:35], -v[38:39]
	v_add_f64_e64 v[12:13], v[32:33], -v[36:37]
	s_delay_alu instid0(VALU_DEP_4) | instskip(SKIP_1) | instid1(VALU_DEP_1)
	v_fma_f64 v[6:7], v[0:1], -0.5, v[28:29]
	v_add_f64_e32 v[0:1], v[34:35], v[38:39]
	v_fma_f64 v[10:11], v[0:1], -0.5, v[30:31]
	v_add_f64_e32 v[0:1], v[30:31], v[34:35]
	s_delay_alu instid0(VALU_DEP_1)
	v_add_f64_e32 v[2:3], v[0:1], v[38:39]
	v_add_f64_e32 v[0:1], v[4:5], v[36:37]
	v_fma_f64 v[4:5], v[8:9], s[12:13], v[6:7]
	v_fma_f64 v[8:9], v[8:9], s[2:3], v[6:7]
	;; [unrolled: 1-line block ×4, first 2 shown]
	ds_store_b128 v234, v[0:3]
	ds_store_b128 v234, v[4:7] offset:5184
	ds_store_b128 v234, v[8:11] offset:10368
	v_add_f64_e32 v[0:1], v[40:41], v[48:49]
	v_add_f64_e32 v[4:5], v[24:25], v[40:41]
	v_add_f64_e64 v[8:9], v[42:43], -v[50:51]
	v_add_f64_e64 v[12:13], v[40:41], -v[48:49]
	s_delay_alu instid0(VALU_DEP_4) | instskip(SKIP_1) | instid1(VALU_DEP_1)
	v_fma_f64 v[6:7], v[0:1], -0.5, v[24:25]
	v_add_f64_e32 v[0:1], v[42:43], v[50:51]
	v_fma_f64 v[10:11], v[0:1], -0.5, v[26:27]
	v_add_f64_e32 v[0:1], v[26:27], v[42:43]
	s_delay_alu instid0(VALU_DEP_1)
	v_add_f64_e32 v[2:3], v[0:1], v[50:51]
	v_add_f64_e32 v[0:1], v[4:5], v[48:49]
	v_fma_f64 v[4:5], v[8:9], s[12:13], v[6:7]
	v_fma_f64 v[8:9], v[8:9], s[2:3], v[6:7]
	;; [unrolled: 1-line block ×4, first 2 shown]
	ds_store_b128 v216, v[0:3] offset:31104
	ds_store_b128 v216, v[4:7] offset:36288
	;; [unrolled: 1-line block ×3, first 2 shown]
	global_wb scope:SCOPE_SE
	s_wait_dscnt 0x0
	s_barrier_signal -1
	s_barrier_wait -1
	global_inv scope:SCOPE_SE
	ds_load_b128 v[0:3], v218 offset:19440
	s_wait_dscnt 0x0
	v_mul_f64_e32 v[4:5], v[194:195], v[2:3]
	s_delay_alu instid0(VALU_DEP_1) | instskip(SKIP_1) | instid1(VALU_DEP_1)
	v_fma_f64 v[4:5], v[192:193], v[0:1], v[4:5]
	v_mul_f64_e32 v[0:1], v[194:195], v[0:1]
	v_fma_f64 v[6:7], v[192:193], v[2:3], -v[0:1]
	ds_load_b128 v[0:3], v218 offset:34992
	s_wait_dscnt 0x0
	v_mul_f64_e32 v[8:9], v[198:199], v[2:3]
	s_delay_alu instid0(VALU_DEP_1) | instskip(SKIP_1) | instid1(VALU_DEP_1)
	v_fma_f64 v[8:9], v[196:197], v[0:1], v[8:9]
	v_mul_f64_e32 v[0:1], v[198:199], v[0:1]
	v_fma_f64 v[10:11], v[196:197], v[2:3], -v[0:1]
	ds_load_b128 v[0:3], v218 offset:23328
	s_wait_dscnt 0x0
	v_mul_f64_e32 v[12:13], v[202:203], v[2:3]
	v_add_f64_e32 v[14:15], v[6:7], v[10:11]
	s_delay_alu instid0(VALU_DEP_2) | instskip(SKIP_1) | instid1(VALU_DEP_1)
	v_fma_f64 v[16:17], v[200:201], v[0:1], v[12:13]
	v_mul_f64_e32 v[0:1], v[202:203], v[0:1]
	v_fma_f64 v[18:19], v[200:201], v[2:3], -v[0:1]
	ds_load_b128 v[0:3], v218 offset:38880
	s_wait_dscnt 0x0
	v_mul_f64_e32 v[12:13], v[210:211], v[2:3]
	s_delay_alu instid0(VALU_DEP_1) | instskip(SKIP_1) | instid1(VALU_DEP_2)
	v_fma_f64 v[20:21], v[208:209], v[0:1], v[12:13]
	v_mul_f64_e32 v[0:1], v[210:211], v[0:1]
	v_add_f64_e32 v[24:25], v[16:17], v[20:21]
	s_delay_alu instid0(VALU_DEP_2)
	v_fma_f64 v[22:23], v[208:209], v[2:3], -v[0:1]
	ds_load_b128 v[0:3], v218 offset:15552
	s_wait_dscnt 0x0
	v_mul_f64_e32 v[12:13], v[158:159], v[2:3]
	v_add_f64_e32 v[26:27], v[18:19], v[22:23]
	v_add_f64_e64 v[48:49], v[18:19], -v[22:23]
	s_delay_alu instid0(VALU_DEP_3) | instskip(SKIP_1) | instid1(VALU_DEP_1)
	v_fma_f64 v[28:29], v[156:157], v[0:1], v[12:13]
	v_mul_f64_e32 v[0:1], v[158:159], v[0:1]
	v_fma_f64 v[30:31], v[156:157], v[2:3], -v[0:1]
	ds_load_b128 v[0:3], v218 offset:31104
	s_wait_dscnt 0x0
	v_mul_f64_e32 v[12:13], v[170:171], v[2:3]
	s_delay_alu instid0(VALU_DEP_1) | instskip(SKIP_1) | instid1(VALU_DEP_1)
	v_fma_f64 v[32:33], v[168:169], v[0:1], v[12:13]
	v_mul_f64_e32 v[0:1], v[170:171], v[0:1]
	v_fma_f64 v[34:35], v[168:169], v[2:3], -v[0:1]
	ds_load_b128 v[0:3], v218 offset:27216
	s_wait_dscnt 0x0
	v_mul_f64_e32 v[12:13], v[206:207], v[2:3]
	v_add_f64_e32 v[50:51], v[30:31], v[34:35]
	s_delay_alu instid0(VALU_DEP_2) | instskip(SKIP_1) | instid1(VALU_DEP_1)
	v_fma_f64 v[36:37], v[204:205], v[0:1], v[12:13]
	v_mul_f64_e32 v[0:1], v[206:207], v[0:1]
	v_fma_f64 v[38:39], v[204:205], v[2:3], -v[0:1]
	ds_load_b128 v[0:3], v218 offset:42768
	s_wait_dscnt 0x0
	v_mul_f64_e32 v[12:13], v[214:215], v[2:3]
	s_delay_alu instid0(VALU_DEP_1) | instskip(SKIP_2) | instid1(VALU_DEP_3)
	v_fma_f64 v[40:41], v[212:213], v[0:1], v[12:13]
	v_mul_f64_e32 v[0:1], v[214:215], v[0:1]
	v_add_f64_e32 v[12:13], v[4:5], v[8:9]
	v_add_f64_e32 v[52:53], v[36:37], v[40:41]
	s_delay_alu instid0(VALU_DEP_3)
	v_fma_f64 v[42:43], v[212:213], v[2:3], -v[0:1]
	ds_load_b128 v[0:3], v218 offset:3888
	s_wait_dscnt 0x0
	v_fma_f64 v[14:15], v[14:15], -0.5, v[2:3]
	v_add_f64_e32 v[2:3], v[2:3], v[6:7]
	v_fma_f64 v[12:13], v[12:13], -0.5, v[0:1]
	v_add_f64_e32 v[0:1], v[0:1], v[4:5]
	v_add_f64_e64 v[6:7], v[6:7], -v[10:11]
	s_delay_alu instid0(VALU_DEP_4) | instskip(SKIP_1) | instid1(VALU_DEP_4)
	v_add_f64_e32 v[2:3], v[2:3], v[10:11]
	v_add_f64_e64 v[10:11], v[4:5], -v[8:9]
	v_add_f64_e32 v[0:1], v[0:1], v[8:9]
	s_delay_alu instid0(VALU_DEP_4) | instskip(SKIP_1) | instid1(VALU_DEP_4)
	v_fma_f64 v[4:5], v[6:7], s[12:13], v[12:13]
	v_fma_f64 v[8:9], v[6:7], s[2:3], v[12:13]
	;; [unrolled: 1-line block ×4, first 2 shown]
	ds_load_b128 v[12:15], v218 offset:7776
	s_wait_dscnt 0x0
	v_fma_f64 v[26:27], v[26:27], -0.5, v[14:15]
	v_add_f64_e32 v[14:15], v[14:15], v[18:19]
	v_fma_f64 v[24:25], v[24:25], -0.5, v[12:13]
	v_add_f64_e32 v[12:13], v[12:13], v[16:17]
	s_delay_alu instid0(VALU_DEP_3) | instskip(SKIP_1) | instid1(VALU_DEP_3)
	v_add_f64_e32 v[14:15], v[14:15], v[22:23]
	v_add_f64_e64 v[22:23], v[16:17], -v[20:21]
	v_add_f64_e32 v[12:13], v[12:13], v[20:21]
	v_fma_f64 v[16:17], v[48:49], s[12:13], v[24:25]
	v_fma_f64 v[20:21], v[48:49], s[2:3], v[24:25]
	v_add_f64_e32 v[48:49], v[28:29], v[32:33]
	v_fma_f64 v[18:19], v[22:23], s[2:3], v[26:27]
	v_fma_f64 v[22:23], v[22:23], s[12:13], v[26:27]
	ds_load_b128 v[24:27], v218
	s_wait_dscnt 0x0
	v_fma_f64 v[50:51], v[50:51], -0.5, v[26:27]
	v_add_f64_e32 v[26:27], v[26:27], v[30:31]
	v_fma_f64 v[48:49], v[48:49], -0.5, v[24:25]
	v_add_f64_e32 v[24:25], v[24:25], v[28:29]
	v_add_f64_e64 v[30:31], v[30:31], -v[34:35]
	s_delay_alu instid0(VALU_DEP_4) | instskip(SKIP_1) | instid1(VALU_DEP_4)
	v_add_f64_e32 v[26:27], v[26:27], v[34:35]
	v_add_f64_e64 v[34:35], v[28:29], -v[32:33]
	v_add_f64_e32 v[24:25], v[24:25], v[32:33]
	s_delay_alu instid0(VALU_DEP_4) | instskip(SKIP_1) | instid1(VALU_DEP_4)
	v_fma_f64 v[28:29], v[30:31], s[12:13], v[48:49]
	v_fma_f64 v[32:33], v[30:31], s[2:3], v[48:49]
	v_fma_f64 v[30:31], v[34:35], s[2:3], v[50:51]
	v_fma_f64 v[34:35], v[34:35], s[12:13], v[50:51]
	ds_load_b128 v[48:51], v218 offset:11664
	s_wait_dscnt 0x0
	v_fma_f64 v[56:57], v[52:53], -0.5, v[48:49]
	v_add_f64_e32 v[52:53], v[38:39], v[42:43]
	v_add_f64_e32 v[48:49], v[48:49], v[36:37]
	v_add_f64_e64 v[36:37], v[36:37], -v[40:41]
	s_delay_alu instid0(VALU_DEP_3) | instskip(SKIP_3) | instid1(VALU_DEP_4)
	v_fma_f64 v[58:59], v[52:53], -0.5, v[50:51]
	v_add_f64_e32 v[50:51], v[50:51], v[38:39]
	v_add_f64_e64 v[38:39], v[38:39], -v[42:43]
	v_add_f64_e32 v[48:49], v[48:49], v[40:41]
	v_fma_f64 v[54:55], v[36:37], s[2:3], v[58:59]
	s_delay_alu instid0(VALU_DEP_4) | instskip(NEXT) | instid1(VALU_DEP_4)
	v_add_f64_e32 v[50:51], v[50:51], v[42:43]
	v_fma_f64 v[52:53], v[38:39], s[12:13], v[56:57]
	v_fma_f64 v[56:57], v[38:39], s[2:3], v[56:57]
	;; [unrolled: 1-line block ×3, first 2 shown]
	ds_store_b128 v218, v[0:3] offset:3888
	ds_store_b128 v218, v[12:15] offset:7776
	;; [unrolled: 1-line block ×3, first 2 shown]
	ds_store_b128 v218, v[24:27]
	ds_store_b128 v218, v[4:7] offset:19440
	ds_store_b128 v218, v[16:19] offset:23328
	;; [unrolled: 1-line block ×8, first 2 shown]
	global_wb scope:SCOPE_SE
	s_wait_dscnt 0x0
	s_barrier_signal -1
	s_barrier_wait -1
	global_inv scope:SCOPE_SE
	s_clause 0x5
	scratch_load_b128 v[6:9], off, off offset:152 th:TH_LOAD_LU
	scratch_load_b128 v[48:51], off, off offset:136 th:TH_LOAD_LU
	;; [unrolled: 1-line block ×6, first 2 shown]
	ds_load_b128 v[0:3], v218
	s_clause 0x3
	scratch_load_b128 v[26:29], off, off offset:72 th:TH_LOAD_LU
	scratch_load_b128 v[30:33], off, off offset:88 th:TH_LOAD_LU
	scratch_load_b128 v[34:37], off, off offset:104 th:TH_LOAD_LU
	scratch_load_b128 v[38:41], off, off offset:120 th:TH_LOAD_LU
	s_mul_u64 s[2:3], s[4:5], 0x1e60
	s_wait_loadcnt_dscnt 0x900
	v_mul_f64_e32 v[4:5], v[8:9], v[2:3]
	s_delay_alu instid0(VALU_DEP_1) | instskip(SKIP_1) | instid1(VALU_DEP_1)
	v_fma_f64 v[4:5], v[6:7], v[0:1], v[4:5]
	v_mul_f64_e32 v[0:1], v[8:9], v[0:1]
	v_fma_f64 v[6:7], v[6:7], v[2:3], -v[0:1]
	ds_load_b128 v[0:3], v218 offset:7776
	s_wait_loadcnt_dscnt 0x700
	v_mul_f64_e32 v[8:9], v[12:13], v[2:3]
	s_delay_alu instid0(VALU_DEP_1) | instskip(SKIP_1) | instid1(VALU_DEP_1)
	v_fma_f64 v[8:9], v[10:11], v[0:1], v[8:9]
	v_mul_f64_e32 v[0:1], v[12:13], v[0:1]
	v_fma_f64 v[10:11], v[10:11], v[2:3], -v[0:1]
	ds_load_b128 v[0:3], v218 offset:15552
	;; [unrolled: 7-line block ×9, first 2 shown]
	s_wait_dscnt 0x0
	v_mul_f64_e32 v[40:41], v[50:51], v[2:3]
	s_delay_alu instid0(VALU_DEP_1) | instskip(SKIP_1) | instid1(VALU_DEP_1)
	v_fma_f64 v[40:41], v[48:49], v[0:1], v[40:41]
	v_mul_f64_e32 v[0:1], v[50:51], v[0:1]
	v_fma_f64 v[42:43], v[48:49], v[2:3], -v[0:1]
	ds_load_b128 v[0:3], v218 offset:34992
	s_wait_dscnt 0x0
	v_mul_f64_e32 v[48:49], v[229:230], v[2:3]
	s_delay_alu instid0(VALU_DEP_1) | instskip(SKIP_1) | instid1(VALU_DEP_1)
	v_fma_f64 v[48:49], v[227:228], v[0:1], v[48:49]
	v_mul_f64_e32 v[0:1], v[229:230], v[0:1]
	v_fma_f64 v[50:51], v[227:228], v[2:3], -v[0:1]
	ds_load_b128 v[0:3], v218 offset:42768
	s_wait_dscnt 0x0
	v_mul_f64_e32 v[52:53], v[46:47], v[2:3]
	s_delay_alu instid0(VALU_DEP_1)
	v_fma_f64 v[52:53], v[44:45], v[0:1], v[52:53]
	v_mul_f64_e32 v[0:1], v[46:47], v[0:1]
	scratch_load_b32 v46, off, off offset:168 th:TH_LOAD_LU ; 4-byte Folded Reload
	v_fma_f64 v[44:45], v[44:45], v[2:3], -v[0:1]
	scratch_load_b64 v[2:3], off, off th:TH_LOAD_LU ; 8-byte Folded Reload
	s_wait_loadcnt 0x0
	v_mad_co_u64_u32 v[0:1], null, s6, v2, 0
	s_delay_alu instid0(VALU_DEP_1) | instskip(SKIP_1) | instid1(VALU_DEP_2)
	v_mad_co_u64_u32 v[1:2], null, s7, v2, v[1:2]
	v_mad_co_u64_u32 v[2:3], null, s4, v46, 0
	v_lshlrev_b64_e32 v[0:1], 4, v[0:1]
	s_delay_alu instid0(VALU_DEP_2) | instskip(NEXT) | instid1(VALU_DEP_1)
	v_mad_co_u64_u32 v[46:47], null, s5, v46, v[3:4]
	v_mov_b32_e32 v3, v46
	s_delay_alu instid0(VALU_DEP_3) | instskip(SKIP_1) | instid1(VALU_DEP_4)
	v_add_co_u32 v46, vcc_lo, s0, v0
	s_wait_alu 0xfffd
	v_add_co_ci_u32_e32 v47, vcc_lo, s1, v1, vcc_lo
	s_delay_alu instid0(VALU_DEP_3)
	v_lshlrev_b64_e32 v[0:1], 4, v[2:3]
	s_mov_b32 s0, 0xe0bf08c7
	s_mov_b32 s1, 0x3f367980
	s_wait_alu 0xfffe
	v_mul_f64_e32 v[2:3], s[0:1], v[6:7]
	v_mul_f64_e32 v[6:7], s[0:1], v[26:27]
	v_add_co_u32 v46, vcc_lo, v46, v0
	s_wait_alu 0xfffd
	v_add_co_ci_u32_e32 v47, vcc_lo, v47, v1, vcc_lo
	v_mul_f64_e32 v[0:1], s[0:1], v[4:5]
	s_delay_alu instid0(VALU_DEP_3) | instskip(SKIP_1) | instid1(VALU_DEP_3)
	v_add_co_u32 v4, vcc_lo, v46, s2
	s_wait_alu 0xfffd
	v_add_co_ci_u32_e32 v5, vcc_lo, s3, v47, vcc_lo
	v_mul_f64_e32 v[26:27], s[0:1], v[44:45]
	global_store_b128 v[46:47], v[0:3], off
	v_mul_f64_e32 v[0:1], s[0:1], v[8:9]
	v_mul_f64_e32 v[2:3], s[0:1], v[10:11]
	;; [unrolled: 1-line block ×3, first 2 shown]
	global_store_b128 v[4:5], v[0:3], off
	v_mul_f64_e32 v[0:1], s[0:1], v[12:13]
	v_mul_f64_e32 v[2:3], s[0:1], v[14:15]
	v_add_co_u32 v4, vcc_lo, v4, s2
	s_wait_alu 0xfffd
	v_add_co_ci_u32_e32 v5, vcc_lo, s3, v5, vcc_lo
	v_mul_f64_e32 v[12:13], s[0:1], v[36:37]
	v_mul_f64_e32 v[14:15], s[0:1], v[38:39]
	global_store_b128 v[4:5], v[0:3], off
	v_mul_f64_e32 v[0:1], s[0:1], v[16:17]
	v_mul_f64_e32 v[2:3], s[0:1], v[18:19]
	v_add_co_u32 v4, vcc_lo, v4, s2
	s_wait_alu 0xfffd
	v_add_co_ci_u32_e32 v5, vcc_lo, s3, v5, vcc_lo
	v_mul_f64_e32 v[16:17], s[0:1], v[40:41]
	s_delay_alu instid0(VALU_DEP_3) | instskip(SKIP_1) | instid1(VALU_DEP_3)
	v_add_co_u32 v8, vcc_lo, v4, s2
	s_wait_alu 0xfffd
	v_add_co_ci_u32_e32 v9, vcc_lo, s3, v5, vcc_lo
	v_mul_f64_e32 v[18:19], s[0:1], v[42:43]
	s_delay_alu instid0(VALU_DEP_3) | instskip(SKIP_1) | instid1(VALU_DEP_3)
	v_add_co_u32 v46, vcc_lo, v8, s2
	s_wait_alu 0xfffd
	v_add_co_ci_u32_e32 v47, vcc_lo, s3, v9, vcc_lo
	s_delay_alu instid0(VALU_DEP_1)
	v_mad_co_u64_u32 v[54:55], null, 0xffff7750, s4, v[46:47]
	global_store_b128 v[4:5], v[0:3], off
	v_mul_f64_e32 v[0:1], s[0:1], v[20:21]
	v_mul_f64_e32 v[2:3], s[0:1], v[22:23]
	;; [unrolled: 1-line block ×6, first 2 shown]
	global_store_b128 v[8:9], v[0:3], off
	v_mul_f64_e32 v[0:1], s[0:1], v[28:29]
	v_mul_f64_e32 v[2:3], s[0:1], v[30:31]
	;; [unrolled: 1-line block ×3, first 2 shown]
	s_mul_i32 s0, s5, 0xffff7750
	v_add_co_u32 v28, vcc_lo, v54, s2
	s_wait_alu 0xfffe
	s_sub_co_i32 s0, s0, s4
	global_store_b128 v[46:47], v[4:7], off
	s_wait_alu 0xfffe
	v_add_nc_u32_e32 v55, s0, v55
	s_wait_alu 0xfffd
	s_delay_alu instid0(VALU_DEP_1) | instskip(SKIP_2) | instid1(VALU_DEP_2)
	v_add_co_ci_u32_e32 v29, vcc_lo, s3, v55, vcc_lo
	v_add_co_u32 v30, vcc_lo, v28, s2
	s_wait_alu 0xfffd
	v_add_co_ci_u32_e32 v31, vcc_lo, s3, v29, vcc_lo
	s_delay_alu instid0(VALU_DEP_2) | instskip(SKIP_1) | instid1(VALU_DEP_2)
	v_add_co_u32 v4, vcc_lo, v30, s2
	s_wait_alu 0xfffd
	v_add_co_ci_u32_e32 v5, vcc_lo, s3, v31, vcc_lo
	s_delay_alu instid0(VALU_DEP_2) | instskip(SKIP_1) | instid1(VALU_DEP_2)
	;; [unrolled: 4-line block ×3, first 2 shown]
	v_add_co_u32 v32, vcc_lo, v6, s2
	s_wait_alu 0xfffd
	v_add_co_ci_u32_e32 v33, vcc_lo, s3, v7, vcc_lo
	global_store_b128 v[54:55], v[0:3], off
	global_store_b128 v[28:29], v[8:11], off
	;; [unrolled: 1-line block ×6, first 2 shown]
.LBB0_2:
	s_nop 0
	s_sendmsg sendmsg(MSG_DEALLOC_VGPRS)
	s_endpgm
	.section	.rodata,"a",@progbits
	.p2align	6, 0x0
	.amdhsa_kernel bluestein_single_back_len2916_dim1_dp_op_CI_CI
		.amdhsa_group_segment_fixed_size 46656
		.amdhsa_private_segment_fixed_size 188
		.amdhsa_kernarg_size 104
		.amdhsa_user_sgpr_count 2
		.amdhsa_user_sgpr_dispatch_ptr 0
		.amdhsa_user_sgpr_queue_ptr 0
		.amdhsa_user_sgpr_kernarg_segment_ptr 1
		.amdhsa_user_sgpr_dispatch_id 0
		.amdhsa_user_sgpr_private_segment_size 0
		.amdhsa_wavefront_size32 1
		.amdhsa_uses_dynamic_stack 0
		.amdhsa_enable_private_segment 1
		.amdhsa_system_sgpr_workgroup_id_x 1
		.amdhsa_system_sgpr_workgroup_id_y 0
		.amdhsa_system_sgpr_workgroup_id_z 0
		.amdhsa_system_sgpr_workgroup_info 0
		.amdhsa_system_vgpr_workitem_id 0
		.amdhsa_next_free_vgpr 256
		.amdhsa_next_free_sgpr 20
		.amdhsa_reserve_vcc 1
		.amdhsa_float_round_mode_32 0
		.amdhsa_float_round_mode_16_64 0
		.amdhsa_float_denorm_mode_32 3
		.amdhsa_float_denorm_mode_16_64 3
		.amdhsa_fp16_overflow 0
		.amdhsa_workgroup_processor_mode 1
		.amdhsa_memory_ordered 1
		.amdhsa_forward_progress 0
		.amdhsa_round_robin_scheduling 0
		.amdhsa_exception_fp_ieee_invalid_op 0
		.amdhsa_exception_fp_denorm_src 0
		.amdhsa_exception_fp_ieee_div_zero 0
		.amdhsa_exception_fp_ieee_overflow 0
		.amdhsa_exception_fp_ieee_underflow 0
		.amdhsa_exception_fp_ieee_inexact 0
		.amdhsa_exception_int_div_zero 0
	.end_amdhsa_kernel
	.text
.Lfunc_end0:
	.size	bluestein_single_back_len2916_dim1_dp_op_CI_CI, .Lfunc_end0-bluestein_single_back_len2916_dim1_dp_op_CI_CI
                                        ; -- End function
	.section	.AMDGPU.csdata,"",@progbits
; Kernel info:
; codeLenInByte = 16900
; NumSgprs: 22
; NumVgprs: 256
; ScratchSize: 188
; MemoryBound: 0
; FloatMode: 240
; IeeeMode: 1
; LDSByteSize: 46656 bytes/workgroup (compile time only)
; SGPRBlocks: 2
; VGPRBlocks: 31
; NumSGPRsForWavesPerEU: 22
; NumVGPRsForWavesPerEU: 256
; Occupancy: 4
; WaveLimiterHint : 1
; COMPUTE_PGM_RSRC2:SCRATCH_EN: 1
; COMPUTE_PGM_RSRC2:USER_SGPR: 2
; COMPUTE_PGM_RSRC2:TRAP_HANDLER: 0
; COMPUTE_PGM_RSRC2:TGID_X_EN: 1
; COMPUTE_PGM_RSRC2:TGID_Y_EN: 0
; COMPUTE_PGM_RSRC2:TGID_Z_EN: 0
; COMPUTE_PGM_RSRC2:TIDIG_COMP_CNT: 0
	.text
	.p2alignl 7, 3214868480
	.fill 96, 4, 3214868480
	.type	__hip_cuid_5b088105bcffb693,@object ; @__hip_cuid_5b088105bcffb693
	.section	.bss,"aw",@nobits
	.globl	__hip_cuid_5b088105bcffb693
__hip_cuid_5b088105bcffb693:
	.byte	0                               ; 0x0
	.size	__hip_cuid_5b088105bcffb693, 1

	.ident	"AMD clang version 19.0.0git (https://github.com/RadeonOpenCompute/llvm-project roc-6.4.0 25133 c7fe45cf4b819c5991fe208aaa96edf142730f1d)"
	.section	".note.GNU-stack","",@progbits
	.addrsig
	.addrsig_sym __hip_cuid_5b088105bcffb693
	.amdgpu_metadata
---
amdhsa.kernels:
  - .args:
      - .actual_access:  read_only
        .address_space:  global
        .offset:         0
        .size:           8
        .value_kind:     global_buffer
      - .actual_access:  read_only
        .address_space:  global
        .offset:         8
        .size:           8
        .value_kind:     global_buffer
      - .actual_access:  read_only
        .address_space:  global
        .offset:         16
        .size:           8
        .value_kind:     global_buffer
      - .actual_access:  read_only
        .address_space:  global
        .offset:         24
        .size:           8
        .value_kind:     global_buffer
      - .actual_access:  read_only
        .address_space:  global
        .offset:         32
        .size:           8
        .value_kind:     global_buffer
      - .offset:         40
        .size:           8
        .value_kind:     by_value
      - .address_space:  global
        .offset:         48
        .size:           8
        .value_kind:     global_buffer
      - .address_space:  global
        .offset:         56
        .size:           8
        .value_kind:     global_buffer
      - .address_space:  global
        .offset:         64
        .size:           8
        .value_kind:     global_buffer
      - .address_space:  global
        .offset:         72
        .size:           8
        .value_kind:     global_buffer
      - .offset:         80
        .size:           4
        .value_kind:     by_value
      - .address_space:  global
        .offset:         88
        .size:           8
        .value_kind:     global_buffer
      - .address_space:  global
        .offset:         96
        .size:           8
        .value_kind:     global_buffer
    .group_segment_fixed_size: 46656
    .kernarg_segment_align: 8
    .kernarg_segment_size: 104
    .language:       OpenCL C
    .language_version:
      - 2
      - 0
    .max_flat_workgroup_size: 243
    .name:           bluestein_single_back_len2916_dim1_dp_op_CI_CI
    .private_segment_fixed_size: 188
    .sgpr_count:     22
    .sgpr_spill_count: 0
    .symbol:         bluestein_single_back_len2916_dim1_dp_op_CI_CI.kd
    .uniform_work_group_size: 1
    .uses_dynamic_stack: false
    .vgpr_count:     256
    .vgpr_spill_count: 46
    .wavefront_size: 32
    .workgroup_processor_mode: 1
amdhsa.target:   amdgcn-amd-amdhsa--gfx1201
amdhsa.version:
  - 1
  - 2
...

	.end_amdgpu_metadata
